;; amdgpu-corpus repo=ROCm/rocFFT kind=compiled arch=gfx1201 opt=O3
	.text
	.amdgcn_target "amdgcn-amd-amdhsa--gfx1201"
	.amdhsa_code_object_version 6
	.protected	bluestein_single_back_len3000_dim1_half_op_CI_CI ; -- Begin function bluestein_single_back_len3000_dim1_half_op_CI_CI
	.globl	bluestein_single_back_len3000_dim1_half_op_CI_CI
	.p2align	8
	.type	bluestein_single_back_len3000_dim1_half_op_CI_CI,@function
bluestein_single_back_len3000_dim1_half_op_CI_CI: ; @bluestein_single_back_len3000_dim1_half_op_CI_CI
; %bb.0:
	s_load_b128 s[16:19], s[0:1], 0x28
	v_mul_u32_u24_e32 v1, 0x290, v0
	s_mov_b32 s2, exec_lo
	v_mov_b32_e32 v3, 0
	s_delay_alu instid0(VALU_DEP_2) | instskip(NEXT) | instid1(VALU_DEP_1)
	v_lshrrev_b32_e32 v1, 16, v1
	v_add_nc_u32_e32 v2, ttmp9, v1
	s_wait_kmcnt 0x0
	s_delay_alu instid0(VALU_DEP_1)
	v_cmpx_gt_u64_e64 s[16:17], v[2:3]
	s_cbranch_execz .LBB0_2
; %bb.1:
	s_clause 0x1
	s_load_b128 s[8:11], s[0:1], 0x18
	s_load_b128 s[4:7], s[0:1], 0x0
	v_mul_lo_u16 v1, 0x64, v1
	s_load_b64 s[0:1], s[0:1], 0x38
	v_mov_b32_e32 v4, v2
	s_delay_alu instid0(VALU_DEP_2) | instskip(SKIP_2) | instid1(VALU_DEP_1)
	v_sub_nc_u16 v20, v0, v1
	scratch_store_b64 off, v[4:5], off offset:216 ; 8-byte Folded Spill
	v_and_b32_e32 v151, 0xffff, v20
	v_lshlrev_b32_e32 v147, 2, v151
	s_wait_kmcnt 0x0
	s_load_b128 s[12:15], s[8:9], 0x0
	global_load_b32 v29, v147, s[4:5]
	v_add_nc_u32_e32 v127, 0x400, v147
	v_add_nc_u32_e32 v97, 0x1800, v147
	;; [unrolled: 1-line block ×11, first 2 shown]
	s_wait_kmcnt 0x0
	v_mad_co_u64_u32 v[0:1], null, s14, v2, 0
	v_mad_co_u64_u32 v[2:3], null, s12, v151, 0
	s_mul_u64 s[2:3], s[12:13], 0x4b0
	s_mul_i32 s8, s13, 0xffffd760
	s_delay_alu instid0(SALU_CYCLE_1) | instskip(NEXT) | instid1(VALU_DEP_1)
	s_sub_co_i32 s8, s8, s12
	v_mad_co_u64_u32 v[4:5], null, s15, v4, v[1:2]
	s_delay_alu instid0(VALU_DEP_1) | instskip(SKIP_1) | instid1(VALU_DEP_1)
	v_mad_co_u64_u32 v[5:6], null, s13, v151, v[3:4]
	v_mov_b32_e32 v1, v4
	v_lshlrev_b64_e32 v[0:1], 2, v[0:1]
	s_delay_alu instid0(VALU_DEP_3) | instskip(NEXT) | instid1(VALU_DEP_1)
	v_mov_b32_e32 v3, v5
	v_lshlrev_b64_e32 v[2:3], 2, v[2:3]
	s_delay_alu instid0(VALU_DEP_3) | instskip(NEXT) | instid1(VALU_DEP_4)
	v_add_co_u32 v0, vcc_lo, s18, v0
	v_add_co_ci_u32_e32 v1, vcc_lo, s19, v1, vcc_lo
	s_delay_alu instid0(VALU_DEP_2) | instskip(SKIP_1) | instid1(VALU_DEP_2)
	v_add_co_u32 v0, vcc_lo, v0, v2
	s_wait_alu 0xfffd
	v_add_co_ci_u32_e32 v1, vcc_lo, v1, v3, vcc_lo
	s_delay_alu instid0(VALU_DEP_2) | instskip(SKIP_1) | instid1(VALU_DEP_2)
	v_add_co_u32 v2, vcc_lo, v0, s2
	s_wait_alu 0xfffd
	v_add_co_ci_u32_e32 v3, vcc_lo, s3, v1, vcc_lo
	s_clause 0x2
	global_load_b32 v27, v147, s[4:5] offset:1200
	global_load_b32 v17, v147, s[4:5] offset:2400
	global_load_b32 v22, v147, s[4:5] offset:3600
	s_clause 0x1
	global_load_b32 v10, v[0:1], off
	global_load_b32 v9, v[2:3], off
	v_add_co_u32 v0, vcc_lo, v2, s2
	s_wait_alu 0xfffd
	v_add_co_ci_u32_e32 v1, vcc_lo, s3, v3, vcc_lo
	global_load_b32 v21, v147, s[4:5] offset:4800
	v_add_co_u32 v2, vcc_lo, v0, s2
	s_wait_alu 0xfffd
	v_add_co_ci_u32_e32 v3, vcc_lo, s3, v1, vcc_lo
	s_clause 0x1
	global_load_b32 v11, v[0:1], off
	global_load_b32 v6, v[2:3], off
	v_add_co_u32 v0, vcc_lo, v2, s2
	s_wait_alu 0xfffd
	v_add_co_ci_u32_e32 v1, vcc_lo, s3, v3, vcc_lo
	global_load_b32 v7, v[0:1], off
	v_add_co_u32 v0, vcc_lo, v0, s2
	s_wait_alu 0xfffd
	v_add_co_ci_u32_e32 v1, vcc_lo, s3, v1, vcc_lo
	global_load_b32 v19, v147, s[4:5] offset:6000
	global_load_b32 v8, v[0:1], off
	v_add_co_u32 v0, vcc_lo, v0, s2
	s_wait_alu 0xfffd
	v_add_co_ci_u32_e32 v1, vcc_lo, s3, v1, vcc_lo
	s_clause 0x1
	global_load_b32 v18, v147, s[4:5] offset:400
	global_load_b32 v35, v147, s[4:5] offset:1600
	v_add_co_u32 v2, vcc_lo, v0, s2
	s_wait_alu 0xfffd
	v_add_co_ci_u32_e32 v3, vcc_lo, s3, v1, vcc_lo
	s_clause 0x2
	global_load_b32 v43, v147, s[4:5] offset:2800
	global_load_b32 v25, v147, s[4:5] offset:2000
	global_load_b32 v40, v147, s[4:5] offset:4000
	v_add_co_u32 v4, vcc_lo, v2, s2
	s_wait_alu 0xfffd
	v_add_co_ci_u32_e32 v5, vcc_lo, s3, v3, vcc_lo
	s_clause 0x2
	global_load_b32 v42, v147, s[4:5] offset:5200
	;; [unrolled: 7-line block ×3, first 2 shown]
	global_load_b32 v38, v147, s[4:5] offset:800
	v_mad_co_u64_u32 v[14:15], null, 0xffffd760, s12, v[12:13]
	s_delay_alu instid0(VALU_DEP_1)
	v_add_nc_u32_e32 v15, s8, v15
	global_load_b32 v16, v[0:1], off
	global_load_b32 v2, v[2:3], off
	;; [unrolled: 1-line block ×5, first 2 shown]
	v_add_co_u32 v0, vcc_lo, v14, s2
	s_wait_alu 0xfffd
	v_add_co_ci_u32_e32 v1, vcc_lo, s3, v15, vcc_lo
	s_wait_loadcnt 0x1a
	v_lshrrev_b32_e32 v15, 16, v29
	s_clause 0x1
	scratch_store_b32 off, v29, off offset:244
	scratch_store_b32 off, v15, off offset:240
	s_wait_loadcnt 0x19
	scratch_store_b32 off, v27, off offset:236 ; 4-byte Folded Spill
	v_lshrrev_b32_e32 v34, 16, v27
	s_wait_loadcnt 0x18
	v_mov_b32_e32 v23, v17
	s_wait_loadcnt 0x16
	v_lshrrev_b32_e32 v12, 16, v10
	v_mul_f16_e32 v13, v15, v10
	s_wait_loadcnt 0x15
	v_lshrrev_b32_e32 v14, 16, v9
	v_mul_f16_e32 v17, v34, v9
	v_lshrrev_b32_e32 v30, 16, v23
	v_mul_f16_e32 v15, v15, v12
	v_lshrrev_b32_e32 v28, 16, v22
	v_fma_f16 v12, v29, v12, -v13
	v_mul_f16_e32 v13, v34, v14
	v_fma_f16 v14, v27, v14, -v17
	v_fmac_f16_e32 v15, v29, v10
	s_wait_loadcnt 0x14
	v_lshrrev_b32_e32 v26, 16, v21
	s_wait_loadcnt 0x13
	v_lshrrev_b32_e32 v10, 16, v11
	v_mul_f16_e32 v17, v30, v11
	v_fmac_f16_e32 v13, v27, v9
	v_pack_b32_f16 v9, v15, v12
	s_wait_loadcnt 0x12
	v_lshrrev_b32_e32 v15, 16, v6
	v_mul_f16_e32 v12, v30, v10
	v_fma_f16 v10, v23, v10, -v17
	v_mul_f16_e32 v17, v28, v6
	v_pack_b32_f16 v13, v13, v14
	s_wait_loadcnt 0x11
	v_lshrrev_b32_e32 v14, 16, v7
	v_fmac_f16_e32 v12, v23, v11
	v_mul_f16_e32 v11, v28, v15
	v_fma_f16 v15, v22, v15, -v17
	v_mul_f16_e32 v17, v26, v7
	s_clause 0x1
	scratch_store_b32 off, v23, off offset:228
	scratch_store_b32 off, v22, off offset:212
	v_pack_b32_f16 v10, v12, v10
	v_fmac_f16_e32 v11, v22, v6
	v_fma_f16 v12, v21, v14, -v17
	s_clause 0x1
	global_load_b32 v17, v147, s[4:5] offset:7200
	global_load_b32 v41, v147, s[4:5] offset:7600
	v_mul_f16_e32 v6, v26, v14
	s_wait_loadcnt 0x12
	v_lshrrev_b32_e32 v22, 16, v19
	s_wait_loadcnt 0x11
	v_lshrrev_b32_e32 v14, 16, v8
	s_clause 0x2
	scratch_store_b32 off, v19, off offset:192
	scratch_store_b32 off, v26, off offset:200
	;; [unrolled: 1-line block ×3, first 2 shown]
	v_fmac_f16_e32 v6, v21, v7
	v_mul_f16_e32 v7, v22, v8
	s_clause 0x2
	scratch_store_b32 off, v34, off offset:232
	scratch_store_b32 off, v30, off offset:224
	scratch_store_b32 off, v28, off offset:208
	v_pack_b32_f16 v6, v6, v12
	v_fma_f16 v7, v19, v14, -v7
	v_mul_f16_e32 v14, v22, v14
	scratch_store_b32 off, v22, off offset:196 ; 4-byte Folded Spill
	s_clause 0x3
	global_load_b32 v36, v147, s[4:5] offset:8800
	global_load_b32 v28, v147, s[4:5] offset:9200
	;; [unrolled: 1-line block ×4, first 2 shown]
	s_wait_loadcnt 0x13
	v_lshrrev_b32_e32 v37, 16, v35
	v_fmac_f16_e32 v14, v19, v8
	v_pack_b32_f16 v8, v11, v15
	s_delay_alu instid0(VALU_DEP_2)
	v_pack_b32_f16 v7, v14, v7
	s_wait_loadcnt 0xa
	v_lshrrev_b32_e32 v11, 16, v16
	s_wait_loadcnt 0x5
	v_lshrrev_b32_e32 v14, 16, v17
	scratch_store_b32 off, v17, off offset:184 ; 4-byte Folded Spill
	v_mul_f16_e32 v12, v14, v16
	s_delay_alu instid0(VALU_DEP_1) | instskip(SKIP_1) | instid1(VALU_DEP_1)
	v_fma_f16 v12, v17, v11, -v12
	v_mul_f16_e32 v11, v14, v11
	v_fmac_f16_e32 v11, v17, v16
	global_load_b32 v16, v147, s[4:5] offset:8400
	s_wait_loadcnt 0x0
	v_lshrrev_b32_e32 v17, 16, v16
	scratch_store_b32 off, v14, off offset:188 ; 4-byte Folded Spill
	v_lshrrev_b32_e32 v14, 16, v2
	scratch_store_b32 off, v17, off offset:180 ; 4-byte Folded Spill
	v_mul_f16_e32 v15, v17, v2
	s_delay_alu instid0(VALU_DEP_1)
	v_fma_f16 v15, v16, v14, -v15
	v_mul_f16_e32 v14, v17, v14
	global_load_b32 v17, v147, s[4:5] offset:9600
	scratch_store_b32 off, v16, off offset:176 ; 4-byte Folded Spill
	v_fmac_f16_e32 v14, v16, v2
	v_lshrrev_b32_e32 v2, 16, v3
	s_wait_loadcnt 0x0
	scratch_store_b32 off, v17, off offset:168 ; 4-byte Folded Spill
	v_lshrrev_b32_e32 v19, 16, v17
	s_clause 0x3
	global_load_b32 v39, v147, s[4:5] offset:10000
	global_load_b32 v34, v147, s[4:5] offset:11200
	;; [unrolled: 1-line block ×4, first 2 shown]
	v_mul_f16_e32 v16, v19, v3
	scratch_store_b32 off, v19, off offset:172 ; 4-byte Folded Spill
	v_fma_f16 v16, v17, v2, -v16
	v_mul_f16_e32 v2, v19, v2
	global_load_b32 v19, v147, s[4:5] offset:10800
	v_fmac_f16_e32 v2, v17, v3
	v_lshrrev_b32_e32 v3, 16, v4
	s_delay_alu instid0(VALU_DEP_2) | instskip(SKIP_4) | instid1(VALU_DEP_1)
	v_pack_b32_f16 v2, v2, v16
	s_wait_loadcnt 0x0
	v_lshrrev_b32_e32 v21, 16, v19
	scratch_store_b32 off, v19, off offset:152 ; 4-byte Folded Spill
	v_mul_f16_e32 v17, v21, v4
	v_fma_f16 v17, v19, v3, -v17
	v_mul_f16_e32 v3, v21, v3
	s_delay_alu instid0(VALU_DEP_1)
	v_fmac_f16_e32 v3, v19, v4
	v_mov_b32_e32 v19, v18
	scratch_store_b32 off, v21, off offset:156 ; 4-byte Folded Spill
	v_lshrrev_b32_e32 v4, 16, v5
	v_pack_b32_f16 v3, v3, v17
	v_lshrrev_b32_e32 v21, 16, v19
	s_clause 0x1
	scratch_store_b32 off, v19, off offset:160
	scratch_store_b32 off, v21, off offset:164
	v_mul_f16_e32 v18, v21, v5
	s_delay_alu instid0(VALU_DEP_1) | instskip(SKIP_1) | instid1(VALU_DEP_1)
	v_fma_f16 v18, v19, v4, -v18
	v_mul_f16_e32 v4, v21, v4
	v_fmac_f16_e32 v4, v19, v5
	v_pack_b32_f16 v5, v11, v12
	v_pack_b32_f16 v11, v14, v15
	s_delay_alu instid0(VALU_DEP_3)
	v_pack_b32_f16 v4, v4, v18
	ds_store_b32 v147, v13 offset:1200
	ds_store_b32 v147, v10 offset:2400
	ds_store_b32 v147, v8 offset:3600
	ds_store_b32 v147, v6 offset:4800
	ds_store_b32 v147, v7 offset:6000
	ds_store_b32 v147, v5 offset:7200
	ds_store_b32 v147, v11 offset:8400
	ds_store_b32 v147, v2 offset:9600
	ds_store_b32 v147, v3 offset:10800
	ds_store_2addr_b32 v147, v9, v4 offset1:100
	v_add_co_u32 v2, vcc_lo, v0, s2
	s_wait_alu 0xfffd
	v_add_co_ci_u32_e32 v3, vcc_lo, s3, v1, vcc_lo
	global_load_b32 v23, v[0:1], off
	v_add_co_u32 v0, vcc_lo, v2, s2
	s_wait_alu 0xfffd
	v_add_co_ci_u32_e32 v1, vcc_lo, s3, v3, vcc_lo
	s_clause 0x1
	scratch_store_b32 off, v35, off offset:136
	scratch_store_b32 off, v37, off offset:140
	v_add_co_u32 v4, vcc_lo, v0, s2
	s_wait_alu 0xfffd
	v_add_co_ci_u32_e32 v5, vcc_lo, s3, v1, vcc_lo
	s_delay_alu instid0(VALU_DEP_2) | instskip(SKIP_1) | instid1(VALU_DEP_2)
	v_add_co_u32 v6, vcc_lo, v4, s2
	s_wait_alu 0xfffd
	v_add_co_ci_u32_e32 v7, vcc_lo, s3, v5, vcc_lo
	global_load_b32 v4, v[4:5], off
	v_add_co_u32 v8, vcc_lo, v6, s2
	s_wait_alu 0xfffd
	v_add_co_ci_u32_e32 v9, vcc_lo, s3, v7, vcc_lo
	s_delay_alu instid0(VALU_DEP_2) | instskip(SKIP_1) | instid1(VALU_DEP_2)
	v_add_co_u32 v10, vcc_lo, v8, s2
	s_wait_alu 0xfffd
	v_add_co_ci_u32_e32 v11, vcc_lo, s3, v9, vcc_lo
	s_delay_alu instid0(VALU_DEP_2) | instskip(SKIP_1) | instid1(VALU_DEP_2)
	;; [unrolled: 4-line block ×3, first 2 shown]
	v_add_co_u32 v14, vcc_lo, v12, s2
	s_wait_alu 0xfffd
	v_add_co_ci_u32_e32 v15, vcc_lo, s3, v13, vcc_lo
	s_delay_alu instid0(VALU_DEP_1) | instskip(NEXT) | instid1(VALU_DEP_1)
	v_mad_co_u64_u32 v[16:17], null, 0xffffd760, s12, v[14:15]
	v_add_nc_u32_e32 v17, s8, v17
	s_delay_alu instid0(VALU_DEP_2) | instskip(SKIP_1) | instid1(VALU_DEP_2)
	v_add_co_u32 v18, vcc_lo, v16, s2
	s_wait_alu 0xfffd
	v_add_co_ci_u32_e32 v19, vcc_lo, s3, v17, vcc_lo
	s_delay_alu instid0(VALU_DEP_2)
	v_add_co_u32 v21, vcc_lo, v18, s2
	global_load_b32 v18, v[18:19], off
	s_wait_alu 0xfffd
	v_add_co_ci_u32_e32 v22, vcc_lo, s3, v19, vcc_lo
	s_wait_loadcnt 0x2
	v_lshrrev_b32_e32 v19, 16, v23
	v_mul_f16_e32 v24, v37, v23
	s_delay_alu instid0(VALU_DEP_1) | instskip(SKIP_1) | instid1(VALU_DEP_1)
	v_fma_f16 v24, v35, v19, -v24
	v_mul_f16_e32 v19, v37, v19
	v_fmac_f16_e32 v19, v35, v23
	v_mov_b32_e32 v35, v25
	s_delay_alu instid0(VALU_DEP_1) | instskip(SKIP_4) | instid1(VALU_DEP_1)
	v_lshrrev_b32_e32 v37, 16, v35
	scratch_store_b32 off, v37, off offset:68 ; 4-byte Folded Spill
	s_wait_loadcnt 0x0
	v_lshrrev_b32_e32 v23, 16, v18
	v_mul_f16_e32 v25, v37, v18
	v_fma_f16 v25, v35, v23, -v25
	v_mul_f16_e32 v23, v37, v23
	s_delay_alu instid0(VALU_DEP_1) | instskip(SKIP_2) | instid1(VALU_DEP_3)
	v_fmac_f16_e32 v23, v35, v18
	v_pack_b32_f16 v18, v19, v24
	v_lshrrev_b32_e32 v24, 16, v33
	v_pack_b32_f16 v19, v23, v25
	v_lshrrev_b32_e32 v23, 16, v43
	scratch_store_b32 off, v24, off offset:60 ; 4-byte Folded Spill
	ds_store_2addr_b32 v127, v18, v19 offset0:144 offset1:244
	global_load_b32 v18, v[2:3], off
	global_load_b32 v19, v[21:22], off
	v_add_co_u32 v2, vcc_lo, v21, s2
	s_wait_alu 0xfffd
	v_add_co_ci_u32_e32 v3, vcc_lo, s3, v22, vcc_lo
	scratch_store_b32 off, v23, off offset:148 ; 4-byte Folded Spill
	s_wait_loadcnt 0x1
	v_lshrrev_b32_e32 v21, 16, v18
	v_mul_f16_e32 v22, v23, v18
	s_delay_alu instid0(VALU_DEP_1) | instskip(SKIP_3) | instid1(VALU_DEP_2)
	v_fma_f16 v22, v43, v21, -v22
	v_mul_f16_e32 v21, v23, v21
	s_wait_loadcnt 0x0
	v_mul_f16_e32 v23, v24, v19
	v_fmac_f16_e32 v21, v43, v18
	v_lshrrev_b32_e32 v18, 16, v19
	s_delay_alu instid0(VALU_DEP_1) | instskip(SKIP_1) | instid1(VALU_DEP_1)
	v_fma_f16 v23, v33, v18, -v23
	v_mul_f16_e32 v18, v24, v18
	v_fmac_f16_e32 v18, v33, v19
	v_pack_b32_f16 v19, v21, v22
	v_add_nc_u32_e32 v21, 0xa00, v147
	v_lshrrev_b32_e32 v22, 16, v32
	s_delay_alu instid0(VALU_DEP_4)
	v_pack_b32_f16 v18, v18, v23
	scratch_store_b32 off, v22, off offset:52 ; 4-byte Folded Spill
	ds_store_2addr_b32 v21, v19, v18 offset0:60 offset1:160
	global_load_b32 v18, v[0:1], off
	v_add_co_u32 v0, vcc_lo, v2, s2
	global_load_b32 v2, v[2:3], off
	v_lshrrev_b32_e32 v21, 16, v40
	s_wait_alu 0xfffd
	v_add_co_ci_u32_e32 v1, vcc_lo, s3, v3, vcc_lo
	s_clause 0x1
	scratch_store_b32 off, v40, off offset:120
	scratch_store_b32 off, v21, off offset:124
	s_wait_loadcnt 0x1
	v_lshrrev_b32_e32 v3, 16, v18
	v_mul_f16_e32 v19, v21, v18
	s_delay_alu instid0(VALU_DEP_1) | instskip(SKIP_3) | instid1(VALU_DEP_2)
	v_fma_f16 v19, v40, v3, -v19
	v_mul_f16_e32 v3, v21, v3
	s_wait_loadcnt 0x0
	v_mul_f16_e32 v21, v22, v2
	v_fmac_f16_e32 v3, v40, v18
	v_lshrrev_b32_e32 v18, 16, v2
	s_delay_alu instid0(VALU_DEP_1) | instskip(SKIP_1) | instid1(VALU_DEP_1)
	v_fma_f16 v21, v32, v18, -v21
	v_mul_f16_e32 v18, v22, v18
	v_fmac_f16_e32 v18, v32, v2
	v_pack_b32_f16 v2, v3, v19
	v_lshrrev_b32_e32 v19, 16, v31
	s_clause 0x1
	scratch_store_b32 off, v31, off offset:40
	scratch_store_b32 off, v32, off offset:48
	v_pack_b32_f16 v3, v18, v21
	v_lshrrev_b32_e32 v18, 16, v42
	s_clause 0x2
	scratch_store_b32 off, v42, off offset:128
	scratch_store_b32 off, v43, off offset:144
	;; [unrolled: 1-line block ×3, first 2 shown]
	ds_store_2addr_b32 v146, v2, v3 offset0:104 offset1:204
	v_add_co_u32 v2, vcc_lo, v0, s2
	global_load_b32 v0, v[0:1], off
	s_wait_alu 0xfffd
	v_add_co_ci_u32_e32 v3, vcc_lo, s3, v1, vcc_lo
	v_lshrrev_b32_e32 v1, 16, v4
	v_mul_f16_e32 v5, v18, v4
	s_clause 0x2
	scratch_store_b32 off, v18, off offset:132
	scratch_store_b32 off, v35, off offset:64
	;; [unrolled: 1-line block ×3, first 2 shown]
	v_fma_f16 v5, v42, v1, -v5
	v_mul_f16_e32 v1, v18, v1
	s_delay_alu instid0(VALU_DEP_1) | instskip(SKIP_3) | instid1(VALU_DEP_1)
	v_fmac_f16_e32 v1, v42, v4
	s_wait_loadcnt 0x0
	v_lshrrev_b32_e32 v4, 16, v0
	v_mul_f16_e32 v18, v19, v0
	v_fma_f16 v18, v31, v4, -v18
	v_mul_f16_e32 v4, v19, v4
	s_delay_alu instid0(VALU_DEP_1) | instskip(SKIP_1) | instid1(VALU_DEP_2)
	v_fmac_f16_e32 v4, v31, v0
	v_pack_b32_f16 v0, v1, v5
	v_pack_b32_f16 v1, v4, v18
	global_load_b32 v4, v[6:7], off
	ds_store_2addr_b32 v148, v0, v1 offset0:20 offset1:120
	v_add_co_u32 v0, vcc_lo, v2, s2
	global_load_b32 v2, v[2:3], off
	global_load_b32 v6, v147, s[4:5] offset:6400
	s_wait_alu 0xfffd
	v_add_co_ci_u32_e32 v1, vcc_lo, s3, v3, vcc_lo
	scratch_store_b32 off, v39, off offset:96 ; 4-byte Folded Spill
	s_wait_loadcnt 0x2
	v_lshrrev_b32_e32 v3, 16, v4
	s_wait_loadcnt 0x0
	v_lshrrev_b32_e32 v7, 16, v6
	s_delay_alu instid0(VALU_DEP_1)
	v_mul_f16_e32 v5, v7, v4
	scratch_store_b32 off, v7, off offset:108 ; 4-byte Folded Spill
	v_fma_f16 v5, v6, v3, -v5
	v_mul_f16_e32 v3, v7, v3
	v_lshrrev_b32_e32 v7, 16, v30
	scratch_store_b32 off, v6, off offset:104 ; 4-byte Folded Spill
	v_fmac_f16_e32 v3, v6, v4
	scratch_store_b32 off, v7, off offset:36 ; 4-byte Folded Spill
	v_lshrrev_b32_e32 v4, 16, v2
	v_mul_f16_e32 v6, v7, v2
	s_delay_alu instid0(VALU_DEP_1) | instskip(SKIP_2) | instid1(VALU_DEP_2)
	v_fma_f16 v6, v30, v4, -v6
	v_mul_f16_e32 v4, v7, v4
	v_lshrrev_b32_e32 v7, 16, v29
	v_fmac_f16_e32 v4, v30, v2
	v_pack_b32_f16 v2, v3, v5
	s_delay_alu instid0(VALU_DEP_2)
	v_pack_b32_f16 v3, v4, v6
	global_load_b32 v4, v[8:9], off
	v_lshrrev_b32_e32 v6, 16, v41
	ds_store_2addr_b32 v97, v2, v3 offset0:64 offset1:164
	v_add_co_u32 v2, vcc_lo, v0, s2
	global_load_b32 v0, v[0:1], off
	s_wait_alu 0xfffd
	v_add_co_ci_u32_e32 v3, vcc_lo, s3, v1, vcc_lo
	scratch_store_b32 off, v6, off offset:116 ; 4-byte Folded Spill
	s_wait_loadcnt 0x1
	v_lshrrev_b32_e32 v1, 16, v4
	v_mul_f16_e32 v5, v6, v4
	s_delay_alu instid0(VALU_DEP_1) | instskip(SKIP_3) | instid1(VALU_DEP_2)
	v_fma_f16 v5, v41, v1, -v5
	v_mul_f16_e32 v1, v6, v1
	s_wait_loadcnt 0x0
	v_mul_f16_e32 v6, v7, v0
	v_fmac_f16_e32 v1, v41, v4
	v_lshrrev_b32_e32 v4, 16, v0
	s_delay_alu instid0(VALU_DEP_1) | instskip(SKIP_1) | instid1(VALU_DEP_1)
	v_fma_f16 v6, v29, v4, -v6
	v_mul_f16_e32 v4, v7, v4
	v_fmac_f16_e32 v4, v29, v0
	v_pack_b32_f16 v0, v1, v5
	s_delay_alu instid0(VALU_DEP_2)
	v_pack_b32_f16 v1, v4, v6
	global_load_b32 v4, v[10:11], off
	v_lshrrev_b32_e32 v6, 16, v36
	scratch_store_b32 off, v7, off offset:28 ; 4-byte Folded Spill
	v_lshrrev_b32_e32 v7, 16, v28
	ds_store_2addr_b32 v144, v0, v1 offset0:108 offset1:208
	v_add_co_u32 v0, vcc_lo, v2, s2
	scratch_store_b32 off, v6, off offset:92 ; 4-byte Folded Spill
	global_load_b32 v2, v[2:3], off
	s_wait_alu 0xfffd
	v_add_co_ci_u32_e32 v1, vcc_lo, s3, v3, vcc_lo
	s_clause 0x2
	scratch_store_b32 off, v41, off offset:112
	scratch_store_b32 off, v30, off offset:32
	scratch_store_b32 off, v7, off offset:20
	s_wait_loadcnt 0x1
	v_lshrrev_b32_e32 v3, 16, v4
	v_mul_f16_e32 v5, v6, v4
	s_delay_alu instid0(VALU_DEP_1) | instskip(SKIP_3) | instid1(VALU_DEP_2)
	v_fma_f16 v5, v36, v3, -v5
	v_mul_f16_e32 v3, v6, v3
	s_wait_loadcnt 0x0
	v_mul_f16_e32 v6, v7, v2
	v_fmac_f16_e32 v3, v36, v4
	v_lshrrev_b32_e32 v4, 16, v2
	s_delay_alu instid0(VALU_DEP_1)
	v_fma_f16 v6, v28, v4, -v6
	v_mul_f16_e32 v4, v7, v4
	v_lshrrev_b32_e32 v7, 16, v27
	s_clause 0x2
	scratch_store_b32 off, v27, off offset:8
	scratch_store_b32 off, v29, off offset:24
	;; [unrolled: 1-line block ×3, first 2 shown]
	v_fmac_f16_e32 v4, v28, v2
	scratch_store_b32 off, v7, off offset:12 ; 4-byte Folded Spill
	v_pack_b32_f16 v2, v3, v5
	v_pack_b32_f16 v3, v4, v6
	global_load_b32 v4, v[12:13], off
	v_lshrrev_b32_e32 v6, 16, v39
	scratch_store_b32 off, v36, off offset:88 ; 4-byte Folded Spill
	ds_store_2addr_b32 v137, v2, v3 offset0:152 offset1:252
	v_add_co_u32 v2, vcc_lo, v0, s2
	scratch_store_b32 off, v6, off offset:100 ; 4-byte Folded Spill
	global_load_b32 v0, v[0:1], off
	s_wait_alu 0xfffd
	v_add_co_ci_u32_e32 v3, vcc_lo, s3, v1, vcc_lo
	s_wait_loadcnt 0x1
	v_lshrrev_b32_e32 v1, 16, v4
	v_mul_f16_e32 v5, v6, v4
	s_delay_alu instid0(VALU_DEP_1) | instskip(SKIP_3) | instid1(VALU_DEP_2)
	v_fma_f16 v5, v39, v1, -v5
	v_mul_f16_e32 v1, v6, v1
	s_wait_loadcnt 0x0
	v_mul_f16_e32 v6, v7, v0
	v_fmac_f16_e32 v1, v39, v4
	v_lshrrev_b32_e32 v4, 16, v0
	s_delay_alu instid0(VALU_DEP_1) | instskip(SKIP_1) | instid1(VALU_DEP_1)
	v_fma_f16 v6, v27, v4, -v6
	v_mul_f16_e32 v4, v7, v4
	v_fmac_f16_e32 v4, v27, v0
	v_pack_b32_f16 v0, v1, v5
	v_lshrrev_b32_e32 v5, 16, v26
	s_delay_alu instid0(VALU_DEP_3)
	v_pack_b32_f16 v1, v4, v6
	v_add_nc_u32_e32 v4, 0x2600, v147
	ds_store_2addr_b32 v4, v0, v1 offset0:68 offset1:168
	global_load_b32 v0, v[14:15], off
	global_load_b32 v1, v[2:3], off
	v_lshrrev_b32_e32 v4, 16, v34
	s_clause 0x2
	scratch_store_b32 off, v26, off
	scratch_store_b32 off, v5, off offset:4
	scratch_store_b32 off, v34, off offset:72
	s_load_b128 s[8:11], s[10:11], 0x0
	scratch_store_b32 off, v4, off offset:76 ; 4-byte Folded Spill
	s_wait_kmcnt 0x0
	s_mul_u64 s[12:13], s[8:9], 0x4b0
	s_wait_loadcnt 0x1
	v_lshrrev_b32_e32 v2, 16, v0
	v_mul_f16_e32 v3, v4, v0
	s_delay_alu instid0(VALU_DEP_1) | instskip(SKIP_3) | instid1(VALU_DEP_2)
	v_fma_f16 v3, v34, v2, -v3
	v_mul_f16_e32 v2, v4, v2
	s_wait_loadcnt 0x0
	v_mul_f16_e32 v4, v5, v1
	v_fmac_f16_e32 v2, v34, v0
	v_lshrrev_b32_e32 v0, 16, v1
	s_delay_alu instid0(VALU_DEP_1) | instskip(SKIP_1) | instid1(VALU_DEP_1)
	v_fma_f16 v4, v26, v0, -v4
	v_mul_f16_e32 v0, v5, v0
	v_fmac_f16_e32 v0, v26, v1
	v_pack_b32_f16 v1, v2, v3
	v_lshrrev_b32_e32 v3, 16, v38
	scratch_store_b32 off, v38, off offset:80 ; 4-byte Folded Spill
	v_pack_b32_f16 v0, v0, v4
	scratch_store_b32 off, v3, off offset:84 ; 4-byte Folded Spill
	ds_store_2addr_b32 v102, v1, v0 offset0:112 offset1:212
	global_load_b32 v0, v[16:17], off
	s_wait_loadcnt 0x0
	v_lshrrev_b32_e32 v1, 16, v0
	v_mul_f16_e32 v2, v3, v0
	s_delay_alu instid0(VALU_DEP_1) | instskip(SKIP_1) | instid1(VALU_DEP_1)
	v_fma_f16 v2, v38, v1, -v2
	v_mul_f16_e32 v1, v3, v1
	v_fmac_f16_e32 v1, v38, v0
	s_delay_alu instid0(VALU_DEP_1)
	v_pack_b32_f16 v0, v1, v2
	v_add_nc_u32_e32 v2, 0x800, v147
	v_add_nc_u32_e32 v84, 0x1200, v147
	ds_store_b32 v147, v0 offset:800
	v_mov_b32_e32 v105, v2
	global_wb scope:SCOPE_SE
	s_wait_storecnt_dscnt 0x0
	s_barrier_signal -1
	s_barrier_wait -1
	global_inv scope:SCOPE_SE
	ds_load_2addr_b32 v[0:1], v2 offset0:88 offset1:188
	ds_load_2addr_b32 v[2:3], v84 offset0:48 offset1:148
	;; [unrolled: 1-line block ×4, first 2 shown]
	v_add_nc_u32_e32 v159, 0x2800, v147
	ds_load_2addr_b32 v[10:11], v148 offset0:120 offset1:220
	ds_load_2addr_b32 v[6:7], v157 offset0:32 offset1:132
	;; [unrolled: 1-line block ×4, first 2 shown]
	s_wait_dscnt 0x7
	v_lshrrev_b32_e32 v27, 16, v0
	s_wait_dscnt 0x6
	v_sub_f16_e32 v4, v0, v2
	s_wait_dscnt 0x4
	v_sub_f16_e32 v5, v16, v18
	v_lshrrev_b32_e32 v23, 16, v2
	v_lshrrev_b32_e32 v24, 16, v18
	;; [unrolled: 1-line block ×3, first 2 shown]
	s_wait_dscnt 0x3
	v_lshrrev_b32_e32 v30, 16, v11
	v_add_f16_e32 v25, v4, v5
	s_wait_dscnt 0x2
	v_sub_f16_e32 v4, v7, v11
	s_wait_dscnt 0x0
	v_sub_f16_e32 v5, v9, v13
	v_lshrrev_b32_e32 v31, 16, v13
	v_lshrrev_b32_e32 v32, 16, v7
	;; [unrolled: 1-line block ×3, first 2 shown]
	v_add_f16_e32 v14, v11, v13
	v_add_f16_e32 v26, v4, v5
	v_sub_f16_e32 v4, v27, v23
	v_sub_f16_e32 v5, v28, v24
	;; [unrolled: 1-line block ×6, first 2 shown]
	v_add_f16_e32 v29, v4, v5
	v_sub_f16_e32 v4, v32, v30
	v_sub_f16_e32 v5, v33, v31
	v_add_f16_e32 v44, v2, v18
	v_sub_f16_e32 v52, v23, v24
	v_sub_f16_e32 v51, v27, v28
	v_add_f16_e32 v46, v23, v24
	v_add_f16_e32 v34, v4, v5
	ds_load_2addr_b32 v[4:5], v160 offset0:72 offset1:172
	s_wait_dscnt 0x0
	v_fma_f16 v35, -0.5, v14, v5
	v_lshrrev_b32_e32 v36, 16, v5
	v_add_f16_e32 v14, v30, v31
	v_add_f16_e32 v22, v5, v7
	s_delay_alu instid0(VALU_DEP_3) | instskip(NEXT) | instid1(VALU_DEP_3)
	v_add_f16_e32 v48, v36, v32
	v_fma_f16 v37, -0.5, v14, v36
	v_fmamk_f16 v14, v38, 0x3b9c, v35
	s_delay_alu instid0(VALU_DEP_4)
	v_add_f16_e32 v22, v22, v11
	v_sub_f16_e32 v11, v11, v7
	v_add_f16_e32 v48, v48, v30
	v_fmamk_f16 v15, v40, 0xbb9c, v37
	v_fmac_f16_e32 v14, 0x38b4, v39
	v_add_f16_e32 v22, v22, v13
	v_sub_f16_e32 v13, v13, v9
	v_fmac_f16_e32 v35, 0xbb9c, v38
	v_fmac_f16_e32 v15, 0xb8b4, v41
	;; [unrolled: 1-line block ×3, first 2 shown]
	v_add_f16_e32 v50, v22, v9
	v_add_f16_e32 v22, v48, v31
	v_sub_f16_e32 v48, v2, v18
	v_fmac_f16_e32 v15, 0x34f2, v34
	v_mul_f16_e32 v42, 0x3a79, v14
	v_mul_f16_e32 v43, 0xb8b4, v14
	v_add_f16_e32 v11, v11, v13
	v_fmac_f16_e32 v37, 0x3b9c, v40
	v_fmac_f16_e32 v35, 0xb8b4, v39
	;; [unrolled: 1-line block ×4, first 2 shown]
	ds_load_2addr_b32 v[14:15], v147 offset1:100
	v_fmac_f16_e32 v37, 0x38b4, v41
	v_fmac_f16_e32 v35, 0x34f2, v26
	v_add_f16_e32 v56, v22, v33
	s_delay_alu instid0(VALU_DEP_3) | instskip(SKIP_4) | instid1(VALU_DEP_3)
	v_fmac_f16_e32 v37, 0x34f2, v34
	s_wait_dscnt 0x0
	v_add_f16_e32 v21, v14, v0
	v_lshrrev_b32_e32 v45, 16, v14
	v_fma_f16 v44, -0.5, v44, v14
	v_add_f16_e32 v21, v21, v2
	s_delay_alu instid0(VALU_DEP_3)
	v_add_f16_e32 v47, v45, v27
	v_sub_f16_e32 v2, v2, v0
	v_fma_f16 v46, -0.5, v46, v45
	v_fmamk_f16 v53, v51, 0x3b9c, v44
	v_add_f16_e32 v21, v21, v18
	v_add_f16_e32 v47, v47, v23
	v_sub_f16_e32 v18, v18, v16
	v_fmac_f16_e32 v44, 0xbb9c, v51
	v_fmac_f16_e32 v53, 0x38b4, v52
	v_add_f16_e32 v49, v21, v16
	v_add_f16_e32 v21, v47, v24
	v_sub_f16_e32 v47, v0, v16
	v_add_f16_e32 v0, v0, v16
	v_add_f16_e32 v2, v2, v18
	v_sub_f16_e32 v18, v23, v27
	v_add_f16_e32 v55, v21, v28
	v_add_f16_e32 v23, v27, v28
	v_fma_f16 v0, -0.5, v0, v14
	v_sub_f16_e32 v24, v24, v28
	v_add_f16_e32 v28, v32, v33
	v_sub_f16_e32 v27, v30, v32
	v_sub_f16_e32 v30, v31, v33
	v_fmamk_f16 v16, v52, 0xbb9c, v0
	v_fmac_f16_e32 v0, 0x3b9c, v52
	v_fmac_f16_e32 v36, -0.5, v28
	v_add_f16_e32 v13, v18, v24
	v_add_f16_e32 v18, v27, v30
	v_fmac_f16_e32 v16, 0x38b4, v51
	v_fmac_f16_e32 v0, 0xb8b4, v51
	v_fmac_f16_e32 v45, -0.5, v23
	v_fmamk_f16 v54, v47, 0xbb9c, v46
	v_fmac_f16_e32 v53, 0x34f2, v25
	v_fmac_f16_e32 v16, 0x34f2, v2
	;; [unrolled: 1-line block ×3, first 2 shown]
	v_add_f16_e32 v2, v7, v9
	v_fmamk_f16 v9, v41, 0x3b9c, v36
	v_fmac_f16_e32 v36, 0xbb9c, v41
	v_fmamk_f16 v7, v48, 0x3b9c, v45
	v_fmac_f16_e32 v45, 0xbb9c, v48
	v_fma_f16 v2, -0.5, v2, v5
	v_fmac_f16_e32 v9, 0xb8b4, v40
	v_fmac_f16_e32 v36, 0x38b4, v40
	;; [unrolled: 1-line block ×4, first 2 shown]
	v_fmamk_f16 v5, v39, 0xbb9c, v2
	v_fmac_f16_e32 v2, 0x3b9c, v39
	v_fmac_f16_e32 v36, 0x34f2, v18
	;; [unrolled: 1-line block ×6, first 2 shown]
	v_mul_f16_e32 v18, 0xb4f2, v36
	v_fmac_f16_e32 v54, 0xb8b4, v48
	v_fmac_f16_e32 v7, 0x34f2, v13
	;; [unrolled: 1-line block ×7, first 2 shown]
	v_add_f16_e32 v21, v49, v50
	v_mul_f16_e32 v11, 0xb4f2, v2
	v_fmac_f16_e32 v18, 0xbb9c, v2
	v_mul_f16_e32 v2, 0xbb9c, v5
	v_sub_f16_e32 v23, v54, v43
	v_fmac_f16_e32 v46, 0x38b4, v48
	v_fmac_f16_e32 v11, 0x3b9c, v36
	v_add_f16_e32 v13, v45, v18
	v_fmac_f16_e32 v2, 0x34f2, v9
	v_mul_f16_e32 v9, 0x3b9c, v9
	v_fmac_f16_e32 v44, 0x34f2, v25
	v_fmac_f16_e32 v46, 0x34f2, v29
	v_add_f16_e32 v22, v55, v56
	v_add_f16_e32 v57, v54, v43
	v_fmac_f16_e32 v9, 0x34f2, v5
	v_add_f16_e32 v5, v0, v11
	v_sub_f16_e32 v0, v0, v11
	v_pack_b32_f16 v21, v21, v22
	v_add_f16_e32 v22, v53, v42
	v_sub_f16_e32 v11, v3, v19
	v_pack_b32_f16 v14, v5, v13
	v_add_f16_e32 v5, v7, v2
	v_add_f16_e32 v13, v16, v9
	v_sub_f16_e32 v2, v7, v2
	v_sub_f16_e32 v7, v16, v9
	v_mul_f16_e32 v9, 0xba79, v37
	v_pack_b32_f16 v22, v22, v57
	v_pack_b32_f16 v13, v13, v5
	v_sub_f16_e32 v5, v53, v42
	v_pack_b32_f16 v24, v7, v2
	v_mul_f16_e32 v7, 0xba79, v35
	v_sub_f16_e32 v2, v49, v50
	v_fmac_f16_e32 v9, 0xb8b4, v35
	v_pack_b32_f16 v23, v5, v23
	v_sub_f16_e32 v5, v55, v56
	v_fmac_f16_e32 v7, 0x38b4, v37
	ds_load_2addr_b32 v[27:28], v127 offset0:144 offset1:244
	ds_load_2addr_b32 v[29:30], v146 offset0:104 offset1:204
	;; [unrolled: 1-line block ×5, first 2 shown]
	global_wb scope:SCOPE_SE
	s_wait_dscnt 0x0
	s_barrier_signal -1
	v_pack_b32_f16 v26, v2, v5
	v_add_f16_e32 v2, v44, v7
	v_add_f16_e32 v5, v46, v9
	s_barrier_wait -1
	global_inv scope:SCOPE_SE
	v_sub_f16_e32 v16, v19, v17
	v_pack_b32_f16 v25, v2, v5
	v_mul_lo_u16 v2, v20, 10
	v_sub_f16_e32 v5, v46, v9
	v_sub_f16_e32 v9, v1, v3
	s_delay_alu instid0(VALU_DEP_3) | instskip(SKIP_3) | instid1(VALU_DEP_4)
	v_and_b32_e32 v2, 0xffff, v2
	v_lshrrev_b32_e32 v37, 16, v29
	v_sub_f16_e32 v49, v31, v33
	v_lshrrev_b32_e32 v38, 16, v35
	v_lshlrev_b32_e32 v163, 2, v2
	v_sub_f16_e32 v2, v44, v7
	v_sub_f16_e32 v7, v45, v18
	ds_store_2addr_b64 v163, v[21:22], v[13:14] offset1:1
	ds_store_2addr_b64 v163, v[25:26], v[23:24] offset0:2 offset1:3
	v_pack_b32_f16 v14, v2, v5
	v_pack_b32_f16 v13, v0, v7
	v_add_f16_e32 v0, v15, v1
	v_add_f16_e32 v5, v3, v19
	;; [unrolled: 1-line block ×3, first 2 shown]
	v_lshrrev_b32_e32 v2, 16, v3
	v_sub_f16_e32 v7, v3, v1
	v_add_f16_e32 v0, v0, v3
	v_lshrrev_b32_e32 v3, 16, v19
	v_sub_f16_e32 v18, v17, v19
	v_sub_f16_e32 v22, v1, v17
	v_fma_f16 v5, -0.5, v5, v15
	v_add_f16_e32 v0, v0, v19
	v_lshrrev_b32_e32 v19, 16, v1
	v_lshrrev_b32_e32 v24, 16, v15
	v_fmac_f16_e32 v15, -0.5, v21
	v_sub_f16_e32 v1, v33, v35
	v_add_f16_e32 v23, v0, v17
	v_sub_f16_e32 v0, v31, v29
	v_lshrrev_b32_e32 v21, 16, v31
	v_lshrrev_b32_e32 v25, 16, v33
	v_add_f16_e32 v39, v37, v38
	v_lshrrev_b32_e32 v17, 16, v17
	v_add_f16_e32 v0, v0, v1
	;; [unrolled: 2-line block ×3, first 2 shown]
	v_sub_f16_e32 v41, v25, v38
	v_add_f16_e32 v7, v7, v16
	v_sub_f16_e32 v16, v2, v3
	v_add_f16_e32 v40, v1, v37
	v_fma_f16 v26, -0.5, v26, v1
	v_fmac_f16_e32 v1, -0.5, v39
	v_sub_f16_e32 v39, v21, v37
	v_sub_f16_e32 v42, v19, v17
	v_add_f16_e32 v44, v24, v19
	v_add_f16_e32 v43, v19, v17
	;; [unrolled: 1-line block ×4, first 2 shown]
	v_fmamk_f16 v41, v16, 0xbb9c, v15
	v_fmac_f16_e32 v15, 0x3b9c, v16
	v_add_f16_e32 v18, v44, v2
	v_sub_f16_e32 v45, v3, v17
	v_sub_f16_e32 v46, v21, v25
	v_fmac_f16_e32 v41, 0x38b4, v42
	v_fmac_f16_e32 v15, 0xb8b4, v42
	v_add_f16_e32 v18, v18, v3
	v_sub_f16_e32 v48, v37, v38
	v_sub_f16_e32 v50, v29, v35
	v_fmac_f16_e32 v41, 0x34f2, v7
	v_fmac_f16_e32 v15, 0x34f2, v7
	v_add_f16_e32 v7, v2, v3
	v_sub_f16_e32 v3, v17, v3
	v_add_f16_e32 v17, v18, v17
	ds_store_b64 v163, v[13:14] offset:32
	v_fma_f16 v7, -0.5, v7, v24
	v_fmac_f16_e32 v24, -0.5, v43
	v_sub_f16_e32 v43, v2, v19
	v_sub_f16_e32 v2, v19, v2
	s_delay_alu instid0(VALU_DEP_2) | instskip(NEXT) | instid1(VALU_DEP_4)
	v_add_f16_e32 v43, v43, v45
	v_fmamk_f16 v45, v11, 0x3b9c, v24
	v_fmac_f16_e32 v24, 0xbb9c, v11
	s_delay_alu instid0(VALU_DEP_4) | instskip(SKIP_4) | instid1(VALU_DEP_3)
	v_add_f16_e32 v19, v2, v3
	v_sub_f16_e32 v2, v29, v31
	v_sub_f16_e32 v3, v35, v33
	v_fmac_f16_e32 v45, 0xb8b4, v22
	v_fmac_f16_e32 v24, 0x38b4, v22
	v_add_f16_e32 v18, v2, v3
	v_add_f16_e32 v2, v40, v21
	s_delay_alu instid0(VALU_DEP_4) | instskip(NEXT) | instid1(VALU_DEP_4)
	v_fmac_f16_e32 v45, 0x34f2, v43
	v_fmac_f16_e32 v24, 0x34f2, v43
	v_add_f16_e32 v43, v29, v35
	v_sub_f16_e32 v3, v37, v21
	v_add_f16_e32 v2, v2, v25
	v_sub_f16_e32 v21, v38, v25
	s_delay_alu instid0(VALU_DEP_4) | instskip(NEXT) | instid1(VALU_DEP_3)
	v_fma_f16 v43, -0.5, v43, v27
	v_add_f16_e32 v25, v2, v38
	v_add_f16_e32 v2, v31, v33
	s_delay_alu instid0(VALU_DEP_4) | instskip(NEXT) | instid1(VALU_DEP_4)
	v_add_f16_e32 v21, v3, v21
	v_fmamk_f16 v47, v46, 0xbb9c, v43
	v_fmac_f16_e32 v43, 0x3b9c, v46
	v_fmamk_f16 v3, v50, 0xbb9c, v26
	v_fma_f16 v37, -0.5, v2, v27
	v_fmac_f16_e32 v26, 0x3b9c, v50
	v_fmac_f16_e32 v47, 0x38b4, v48
	;; [unrolled: 1-line block ×4, first 2 shown]
	v_fmamk_f16 v2, v48, 0x3b9c, v37
	v_fmac_f16_e32 v37, 0xbb9c, v48
	v_fmac_f16_e32 v47, 0x34f2, v0
	;; [unrolled: 1-line block ×3, first 2 shown]
	v_fmamk_f16 v0, v49, 0x3b9c, v1
	v_fmac_f16_e32 v1, 0xbb9c, v49
	v_fmac_f16_e32 v2, 0x38b4, v46
	;; [unrolled: 1-line block ×11, first 2 shown]
	v_mul_f16_e32 v38, 0x3a79, v2
	v_mul_f16_e32 v40, 0xb8b4, v2
	v_add_f16_e32 v2, v27, v29
	v_fmamk_f16 v27, v42, 0x3b9c, v5
	v_mul_f16_e32 v51, 0xb4f2, v1
	v_fmamk_f16 v29, v22, 0xbb9c, v7
	v_fmac_f16_e32 v5, 0xbb9c, v42
	v_add_f16_e32 v2, v2, v31
	v_mul_f16_e32 v39, 0xb4f2, v43
	v_fmac_f16_e32 v51, 0xbb9c, v43
	v_mul_f16_e32 v43, 0x3b9c, v0
	v_fmac_f16_e32 v27, 0x38b4, v16
	v_fmac_f16_e32 v29, 0xb8b4, v11
	v_add_f16_e32 v2, v2, v33
	v_fmac_f16_e32 v7, 0x3b9c, v22
	v_fmac_f16_e32 v5, 0xb8b4, v16
	;; [unrolled: 1-line block ×5, first 2 shown]
	v_mul_f16_e32 v47, 0xbb9c, v47
	v_fmac_f16_e32 v38, 0x38b4, v3
	v_fmac_f16_e32 v40, 0x3a79, v3
	;; [unrolled: 1-line block ×4, first 2 shown]
	v_add_f16_e32 v31, v2, v35
	v_fmac_f16_e32 v7, 0x38b4, v11
	v_fmac_f16_e32 v5, 0x34f2, v9
	v_mul_f16_e32 v9, 0xba79, v37
	v_mul_f16_e32 v11, 0xba79, v26
	v_fmac_f16_e32 v47, 0x34f2, v0
	v_add_f16_e32 v0, v15, v39
	v_add_f16_e32 v1, v24, v51
	;; [unrolled: 1-line block ×5, first 2 shown]
	v_sub_f16_e32 v18, v23, v31
	v_sub_f16_e32 v17, v17, v25
	v_add_co_u32 v21, null, 0x64, v151
	v_fmac_f16_e32 v7, 0x34f2, v19
	v_fmac_f16_e32 v9, 0x38b4, v26
	;; [unrolled: 1-line block ×3, first 2 shown]
	v_pack_b32_f16 v1, v0, v1
	v_add_f16_e32 v0, v41, v43
	v_add_f16_e32 v52, v45, v47
	v_pack_b32_f16 v3, v2, v3
	v_add_f16_e32 v2, v23, v31
	v_pack_b32_f16 v17, v18, v17
	v_mul_u32_u24_e32 v18, 10, v21
	v_sub_f16_e32 v13, v27, v38
	v_sub_f16_e32 v14, v41, v43
	;; [unrolled: 1-line block ×4, first 2 shown]
	v_add_f16_e32 v16, v5, v9
	v_add_f16_e32 v19, v7, v11
	v_pack_b32_f16 v0, v0, v52
	v_pack_b32_f16 v2, v2, v33
	v_lshlrev_b32_e32 v165, 2, v18
	v_pack_b32_f16 v13, v13, v27
	v_pack_b32_f16 v14, v14, v29
	;; [unrolled: 1-line block ×3, first 2 shown]
	ds_store_2addr_b64 v165, v[2:3], v[0:1] offset1:1
	ds_store_2addr_b64 v165, v[16:17], v[13:14] offset0:2 offset1:3
	v_sub_f16_e32 v1, v5, v9
	v_sub_f16_e32 v2, v7, v11
	;; [unrolled: 1-line block ×4, first 2 shown]
	v_lshrrev_b32_e32 v5, 16, v32
	v_sub_f16_e32 v9, v32, v30
	v_pack_b32_f16 v1, v1, v2
	v_add_f16_e32 v2, v28, v30
	v_pack_b32_f16 v0, v0, v3
	v_add_f16_e32 v3, v32, v34
	v_lshrrev_b32_e32 v13, 16, v34
	v_sub_f16_e32 v15, v34, v36
	v_add_f16_e32 v2, v2, v32
	v_lshrrev_b32_e32 v16, 16, v30
	v_lshrrev_b32_e32 v22, 16, v36
	v_add_f16_e32 v17, v30, v36
	v_lshrrev_b32_e32 v24, 16, v4
	v_add_f16_e32 v2, v2, v34
	v_add_f16_e32 v25, v4, v6
	v_fma_f16 v26, -0.5, v3, v28
	v_add_f16_e32 v3, v9, v15
	v_add_f16_e32 v9, v5, v13
	;; [unrolled: 1-line block ×5, first 2 shown]
	v_sub_f16_e32 v11, v32, v34
	v_sub_f16_e32 v27, v13, v22
	;; [unrolled: 1-line block ×3, first 2 shown]
	v_fma_f16 v23, -0.5, v2, v4
	v_add_f16_e32 v2, v6, v8
	v_sub_f16_e32 v29, v5, v13
	v_sub_f16_e32 v7, v30, v32
	;; [unrolled: 1-line block ×4, first 2 shown]
	v_fmac_f16_e32 v4, -0.5, v2
	v_lshrrev_b32_e32 v2, 16, v28
	v_fmac_f16_e32 v28, -0.5, v17
	v_sub_f16_e32 v33, v10, v6
	v_sub_f16_e32 v34, v12, v8
	v_lshrrev_b32_e32 v35, 16, v12
	v_fma_f16 v9, -0.5, v9, v2
	v_add_f16_e32 v17, v2, v16
	v_fmac_f16_e32 v2, -0.5, v15
	v_sub_f16_e32 v15, v5, v16
	v_fmamk_f16 v30, v29, 0xbb9c, v28
	v_fmac_f16_e32 v28, 0x3b9c, v29
	v_add_f16_e32 v33, v33, v34
	v_sub_f16_e32 v34, v6, v10
	v_add_f16_e32 v15, v15, v27
	v_fmamk_f16 v27, v11, 0x3b9c, v2
	v_fmac_f16_e32 v2, 0xbb9c, v11
	v_fmac_f16_e32 v28, 0xb8b4, v31
	v_lshrrev_b32_e32 v36, 16, v6
	v_sub_f16_e32 v37, v6, v8
	v_lshrrev_b32_e32 v6, 16, v8
	v_fmac_f16_e32 v2, 0x38b4, v18
	v_fmac_f16_e32 v28, 0x34f2, v3
	v_add_f16_e32 v41, v24, v36
	v_fmac_f16_e32 v27, 0xb8b4, v18
	v_sub_f16_e32 v40, v36, v6
	v_fmac_f16_e32 v2, 0x34f2, v15
	v_sub_f16_e32 v42, v35, v6
	v_fmac_f16_e32 v30, 0x38b4, v31
	v_fmac_f16_e32 v27, 0x34f2, v15
	v_add_f16_e32 v14, v7, v14
	v_mul_f16_e32 v32, 0xb4f2, v2
	v_sub_f16_e32 v7, v22, v13
	v_fmac_f16_e32 v30, 0x34f2, v3
	v_mul_f16_e32 v15, 0x3b9c, v27
	ds_store_b64 v165, v[0:1] offset:32
	v_fmac_f16_e32 v32, 0xbb9c, v28
	v_mul_f16_e32 v28, 0xb4f2, v28
	v_fmac_f16_e32 v15, 0x34f2, v30
	v_mul_f16_e32 v30, 0xbb9c, v30
	s_delay_alu instid0(VALU_DEP_3) | instskip(SKIP_4) | instid1(VALU_DEP_4)
	v_fmac_f16_e32 v28, 0x3b9c, v2
	v_add_f16_e32 v2, v25, v10
	v_lshrrev_b32_e32 v25, 16, v10
	v_sub_f16_e32 v10, v10, v12
	v_fmac_f16_e32 v30, 0x34f2, v27
	v_add_f16_e32 v2, v2, v12
	s_delay_alu instid0(VALU_DEP_4) | instskip(SKIP_1) | instid1(VALU_DEP_3)
	v_sub_f16_e32 v39, v25, v35
	v_sub_f16_e32 v12, v8, v12
	v_add_f16_e32 v38, v2, v8
	s_delay_alu instid0(VALU_DEP_3)
	v_fmamk_f16 v8, v39, 0xbb9c, v4
	v_fmac_f16_e32 v4, 0x3b9c, v39
	v_add_f16_e32 v2, v25, v35
	v_add_f16_e32 v12, v34, v12
	v_sub_f16_e32 v34, v6, v35
	v_fmac_f16_e32 v8, 0x38b4, v40
	v_fmac_f16_e32 v4, 0xb8b4, v40
	s_delay_alu instid0(VALU_DEP_2) | instskip(NEXT) | instid1(VALU_DEP_2)
	v_fmac_f16_e32 v8, 0x34f2, v33
	v_fmac_f16_e32 v4, 0x34f2, v33
	v_fma_f16 v33, -0.5, v2, v24
	v_add_f16_e32 v2, v36, v6
	s_delay_alu instid0(VALU_DEP_4) | instskip(NEXT) | instid1(VALU_DEP_2)
	v_sub_f16_e32 v1, v8, v15
	v_fmac_f16_e32 v24, -0.5, v2
	v_sub_f16_e32 v2, v25, v36
	s_delay_alu instid0(VALU_DEP_1) | instskip(NEXT) | instid1(VALU_DEP_3)
	v_add_f16_e32 v2, v2, v42
	v_fmamk_f16 v42, v10, 0x3b9c, v24
	v_fmac_f16_e32 v24, 0xbb9c, v10
	s_delay_alu instid0(VALU_DEP_2) | instskip(NEXT) | instid1(VALU_DEP_2)
	v_fmac_f16_e32 v42, 0xb8b4, v37
	v_fmac_f16_e32 v24, 0x38b4, v37
	s_delay_alu instid0(VALU_DEP_2) | instskip(NEXT) | instid1(VALU_DEP_2)
	v_fmac_f16_e32 v42, 0x34f2, v2
	v_fmac_f16_e32 v24, 0x34f2, v2
	v_add_f16_e32 v2, v4, v28
	s_delay_alu instid0(VALU_DEP_3) | instskip(NEXT) | instid1(VALU_DEP_3)
	v_add_f16_e32 v27, v42, v30
	v_add_f16_e32 v3, v24, v32
	s_delay_alu instid0(VALU_DEP_1) | instskip(SKIP_2) | instid1(VALU_DEP_2)
	v_pack_b32_f16 v3, v2, v3
	v_add_f16_e32 v2, v8, v15
	v_sub_f16_e32 v8, v42, v30
	v_pack_b32_f16 v2, v2, v27
	v_add_f16_e32 v27, v41, v25
	v_sub_f16_e32 v25, v36, v25
	s_delay_alu instid0(VALU_DEP_4) | instskip(NEXT) | instid1(VALU_DEP_3)
	v_pack_b32_f16 v8, v1, v8
	v_add_f16_e32 v27, v27, v35
	s_delay_alu instid0(VALU_DEP_3) | instskip(SKIP_2) | instid1(VALU_DEP_4)
	v_add_f16_e32 v25, v25, v34
	v_fmamk_f16 v34, v37, 0xbb9c, v33
	v_fmac_f16_e32 v33, 0x3b9c, v37
	v_add_f16_e32 v27, v27, v6
	v_add_f16_e32 v6, v17, v5
	v_sub_f16_e32 v5, v16, v5
	v_fmac_f16_e32 v34, 0xb8b4, v10
	v_fmac_f16_e32 v33, 0x38b4, v10
	s_delay_alu instid0(VALU_DEP_4) | instskip(NEXT) | instid1(VALU_DEP_4)
	v_add_f16_e32 v6, v6, v13
	v_add_f16_e32 v13, v5, v7
	v_fmamk_f16 v5, v31, 0x3b9c, v26
	v_fmac_f16_e32 v26, 0xbb9c, v31
	v_fmac_f16_e32 v34, 0x34f2, v25
	v_add_f16_e32 v16, v6, v22
	v_fmamk_f16 v6, v18, 0xbb9c, v9
	v_fmac_f16_e32 v5, 0x38b4, v29
	v_fmamk_f16 v22, v40, 0x3b9c, v23
	v_fmac_f16_e32 v9, 0x3b9c, v18
	v_fmac_f16_e32 v26, 0xb8b4, v29
	;; [unrolled: 1-line block ×8, first 2 shown]
	v_mul_f16_e32 v7, 0x3a79, v5
	v_mul_f16_e32 v17, 0xb8b4, v5
	v_fmac_f16_e32 v22, 0x34f2, v12
	v_fmac_f16_e32 v26, 0x34f2, v14
	;; [unrolled: 1-line block ×6, first 2 shown]
	v_mul_f16_e32 v1, 0xba79, v26
	v_mul_f16_e32 v11, 0xba79, v9
	v_add_f16_e32 v5, v22, v7
	v_sub_f16_e32 v0, v22, v7
	v_sub_f16_e32 v7, v34, v17
	v_fmac_f16_e32 v23, 0x34f2, v12
	v_fmac_f16_e32 v33, 0x34f2, v25
	;; [unrolled: 1-line block ×4, first 2 shown]
	v_pack_b32_f16 v7, v0, v7
	v_sub_f16_e32 v0, v38, v19
	v_sub_f16_e32 v10, v27, v16
	v_add_f16_e32 v6, v34, v17
	v_add_f16_e32 v9, v23, v1
	;; [unrolled: 1-line block ×4, first 2 shown]
	v_pack_b32_f16 v10, v0, v10
	v_add_co_u32 v0, null, 0xc8, v151
	v_pack_b32_f16 v6, v5, v6
	v_add_f16_e32 v5, v38, v19
	v_pack_b32_f16 v9, v9, v12
	s_delay_alu instid0(VALU_DEP_4) | instskip(SKIP_1) | instid1(VALU_DEP_4)
	v_mul_u32_u24_e32 v12, 10, v0
	v_sub_f16_e32 v1, v23, v1
	v_pack_b32_f16 v5, v5, v35
	s_delay_alu instid0(VALU_DEP_3)
	v_lshlrev_b32_e32 v164, 2, v12
	ds_store_2addr_b64 v164, v[5:6], v[2:3] offset1:1
	ds_store_2addr_b64 v164, v[9:10], v[7:8] offset0:2 offset1:3
	v_sub_f16_e32 v3, v4, v28
	v_sub_f16_e32 v2, v33, v11
	;; [unrolled: 1-line block ×3, first 2 shown]
	s_delay_alu instid0(VALU_DEP_2) | instskip(NEXT) | instid1(VALU_DEP_2)
	v_pack_b32_f16 v2, v1, v2
	v_pack_b32_f16 v1, v3, v4
	ds_store_b64 v164, v[1:2] offset:32
	v_add_co_u32 v1, null, 0x12c, v151
	global_wb scope:SCOPE_SE
	s_wait_dscnt 0x0
	s_barrier_signal -1
	s_barrier_wait -1
	v_and_b32_e32 v2, 0xffff, v1
	global_inv scope:SCOPE_SE
	v_mul_u32_u24_e32 v2, 0xcccd, v2
	s_delay_alu instid0(VALU_DEP_1) | instskip(NEXT) | instid1(VALU_DEP_1)
	v_lshrrev_b32_e32 v8, 19, v2
	v_mul_lo_u16 v2, v8, 10
	s_delay_alu instid0(VALU_DEP_1) | instskip(SKIP_1) | instid1(VALU_DEP_2)
	v_sub_nc_u16 v9, v1, v2
	v_add_co_u32 v1, null, 0x190, v151
	v_lshlrev_b16 v22, 1, v9
	s_delay_alu instid0(VALU_DEP_2) | instskip(SKIP_1) | instid1(VALU_DEP_3)
	v_and_b32_e32 v2, 0xffff, v1
	v_mad_u16 v8, v8, 30, v9
	v_and_b32_e32 v22, 0xffff, v22
	s_delay_alu instid0(VALU_DEP_3) | instskip(NEXT) | instid1(VALU_DEP_3)
	v_mul_u32_u24_e32 v2, 0xcccd, v2
	v_and_b32_e32 v8, 0xffff, v8
	s_delay_alu instid0(VALU_DEP_2) | instskip(NEXT) | instid1(VALU_DEP_2)
	v_lshrrev_b32_e32 v4, 19, v2
	v_lshlrev_b32_e32 v8, 2, v8
	s_delay_alu instid0(VALU_DEP_2) | instskip(NEXT) | instid1(VALU_DEP_1)
	v_mul_lo_u16 v2, v4, 10
	v_sub_nc_u16 v6, v1, v2
	v_add_co_u32 v1, null, 0x1f4, v151
	s_delay_alu instid0(VALU_DEP_2) | instskip(NEXT) | instid1(VALU_DEP_2)
	v_mad_u16 v4, v4, 30, v6
	v_and_b32_e32 v2, 0xffff, v1
	s_delay_alu instid0(VALU_DEP_2) | instskip(NEXT) | instid1(VALU_DEP_2)
	v_and_b32_e32 v4, 0xffff, v4
	v_mul_u32_u24_e32 v2, 0xcccd, v2
	s_delay_alu instid0(VALU_DEP_2) | instskip(NEXT) | instid1(VALU_DEP_2)
	v_lshlrev_b32_e32 v4, 2, v4
	v_lshrrev_b32_e32 v13, 19, v2
	s_delay_alu instid0(VALU_DEP_1) | instskip(NEXT) | instid1(VALU_DEP_1)
	v_mul_lo_u16 v2, v13, 10
	v_sub_nc_u16 v17, v1, v2
	v_add_co_u32 v1, null, 0x258, v151
	s_delay_alu instid0(VALU_DEP_1) | instskip(NEXT) | instid1(VALU_DEP_1)
	v_and_b32_e32 v2, 0xffff, v1
	v_mul_u32_u24_e32 v2, 0xcccd, v2
	s_delay_alu instid0(VALU_DEP_1) | instskip(NEXT) | instid1(VALU_DEP_1)
	v_lshrrev_b32_e32 v14, 19, v2
	v_mul_lo_u16 v2, v14, 10
	s_delay_alu instid0(VALU_DEP_1) | instskip(SKIP_1) | instid1(VALU_DEP_1)
	v_sub_nc_u16 v16, v1, v2
	v_add_co_u32 v1, null, 0x2bc, v151
	v_and_b32_e32 v2, 0xffff, v1
	s_delay_alu instid0(VALU_DEP_1) | instskip(NEXT) | instid1(VALU_DEP_1)
	v_mul_u32_u24_e32 v2, 0xcccd, v2
	v_lshrrev_b32_e32 v11, 19, v2
	s_delay_alu instid0(VALU_DEP_1) | instskip(NEXT) | instid1(VALU_DEP_1)
	v_mul_lo_u16 v2, v11, 10
	v_sub_nc_u16 v12, v1, v2
	v_add_co_u32 v1, null, 0x320, v151
	s_delay_alu instid0(VALU_DEP_2) | instskip(NEXT) | instid1(VALU_DEP_2)
	v_mad_u16 v11, v11, 30, v12
	v_and_b32_e32 v2, 0xffff, v1
	s_delay_alu instid0(VALU_DEP_2) | instskip(NEXT) | instid1(VALU_DEP_2)
	v_and_b32_e32 v11, 0xffff, v11
	v_mul_u32_u24_e32 v2, 0xcccd, v2
	s_delay_alu instid0(VALU_DEP_2) | instskip(NEXT) | instid1(VALU_DEP_2)
	v_lshlrev_b32_e32 v11, 2, v11
	v_lshrrev_b32_e32 v5, 19, v2
	s_delay_alu instid0(VALU_DEP_1) | instskip(NEXT) | instid1(VALU_DEP_1)
	v_mul_lo_u16 v2, v5, 10
	v_sub_nc_u16 v7, v1, v2
	v_add_co_u32 v1, null, 0x384, v151
	s_delay_alu instid0(VALU_DEP_1) | instskip(NEXT) | instid1(VALU_DEP_1)
	v_and_b32_e32 v2, 0xffff, v1
	v_mul_u32_u24_e32 v2, 0xcccd, v2
	s_delay_alu instid0(VALU_DEP_1) | instskip(NEXT) | instid1(VALU_DEP_1)
	v_lshrrev_b32_e32 v2, 19, v2
	v_mul_lo_u16 v3, v2, 10
	s_delay_alu instid0(VALU_DEP_1) | instskip(SKIP_1) | instid1(VALU_DEP_2)
	v_sub_nc_u16 v3, v1, v3
	v_and_b32_e32 v1, 0xff, v20
	v_mad_u16 v2, v2, 30, v3
	s_delay_alu instid0(VALU_DEP_2) | instskip(NEXT) | instid1(VALU_DEP_2)
	v_mul_lo_u16 v10, 0xcd, v1
	v_and_b32_e32 v2, 0xffff, v2
	s_delay_alu instid0(VALU_DEP_2) | instskip(NEXT) | instid1(VALU_DEP_2)
	v_lshrrev_b16 v26, 11, v10
	v_lshlrev_b32_e32 v2, 2, v2
	s_delay_alu instid0(VALU_DEP_2) | instskip(SKIP_1) | instid1(VALU_DEP_2)
	v_mul_lo_u16 v10, v26, 10
	v_and_b32_e32 v26, 0xffff, v26
	v_sub_nc_u16 v10, v20, v10
	s_delay_alu instid0(VALU_DEP_2) | instskip(NEXT) | instid1(VALU_DEP_2)
	v_mul_u32_u24_e32 v26, 30, v26
	v_and_b32_e32 v27, 0xff, v10
	v_and_b32_e32 v10, 0xffff, v0
	s_delay_alu instid0(VALU_DEP_2) | instskip(NEXT) | instid1(VALU_DEP_2)
	v_add_lshl_u32 v77, v26, v27, 2
	v_mul_u32_u24_e32 v15, 0xcccd, v10
	s_delay_alu instid0(VALU_DEP_2) | instskip(NEXT) | instid1(VALU_DEP_2)
	v_mov_b32_e32 v79, v77
	v_lshrrev_b32_e32 v48, 19, v15
	v_and_b32_e32 v15, 0xff, v21
	s_delay_alu instid0(VALU_DEP_1) | instskip(SKIP_1) | instid1(VALU_DEP_2)
	v_mul_lo_u16 v18, 0xcd, v15
	v_mul_lo_u16 v15, 0x89, v15
	v_lshrrev_b16 v71, 11, v18
	v_mul_lo_u16 v18, v48, 10
	s_delay_alu instid0(VALU_DEP_3) | instskip(NEXT) | instid1(VALU_DEP_2)
	v_lshrrev_b16 v104, 12, v15
	v_sub_nc_u16 v72, v0, v18
	s_delay_alu instid0(VALU_DEP_4) | instskip(SKIP_1) | instid1(VALU_DEP_4)
	v_mul_lo_u16 v18, v71, 10
	v_and_b32_e32 v71, 0xffff, v71
	v_mul_lo_u16 v15, v104, 30
	s_delay_alu instid0(VALU_DEP_4) | instskip(NEXT) | instid1(VALU_DEP_4)
	v_lshlrev_b16 v19, 1, v72
	v_sub_nc_u16 v18, v21, v18
	s_delay_alu instid0(VALU_DEP_4) | instskip(NEXT) | instid1(VALU_DEP_4)
	v_mul_u32_u24_e32 v71, 30, v71
	v_sub_nc_u16 v15, v21, v15
	s_delay_alu instid0(VALU_DEP_4) | instskip(NEXT) | instid1(VALU_DEP_4)
	v_and_b32_e32 v19, 0xffff, v19
	v_and_b32_e32 v73, 0xff, v18
	s_delay_alu instid0(VALU_DEP_2)
	v_lshlrev_b32_e32 v18, 2, v19
	v_lshlrev_b32_e32 v19, 2, v22
	v_lshlrev_b32_e32 v22, 3, v27
	global_load_b64 v[63:64], v22, s[6:7]
	v_lshlrev_b32_e32 v22, 3, v73
	s_clause 0x2
	global_load_b64 v[65:66], v22, s[6:7]
	global_load_b64 v[59:60], v18, s[6:7]
	;; [unrolled: 1-line block ×3, first 2 shown]
	ds_load_2addr_b32 v[18:19], v146 offset0:104 offset1:204
	ds_load_2addr_b32 v[24:25], v147 offset1:100
	v_add_lshl_u32 v73, v71, v73, 2
	s_wait_dscnt 0x1
	v_lshrrev_b32_e32 v28, 16, v18
	s_wait_dscnt 0x0
	v_lshrrev_b32_e32 v74, 16, v24
	s_wait_loadcnt 0x3
	v_lshrrev_b32_e32 v22, 16, v63
	v_lshrrev_b32_e32 v34, 16, v64
	s_wait_loadcnt 0x2
	v_lshrrev_b32_e32 v81, 16, v66
	s_delay_alu instid0(VALU_DEP_3) | instskip(SKIP_4) | instid1(VALU_DEP_2)
	v_mul_f16_e32 v29, v18, v22
	v_mov_b32_e32 v35, v22
	ds_load_2addr_b32 v[22:23], v108 offset0:80 offset1:180
	v_fmac_f16_e32 v29, v28, v63
	v_mul_f16_e32 v28, v28, v35
	v_add_f16_e32 v33, v74, v29
	s_delay_alu instid0(VALU_DEP_2) | instskip(NEXT) | instid1(VALU_DEP_1)
	v_fma_f16 v18, v18, v63, -v28
	v_add_f16_e32 v28, v24, v18
	s_wait_dscnt 0x0
	v_lshrrev_b32_e32 v30, 16, v22
	v_mul_f16_e32 v31, v22, v34
	s_delay_alu instid0(VALU_DEP_1) | instskip(SKIP_1) | instid1(VALU_DEP_2)
	v_fmac_f16_e32 v31, v30, v64
	v_mul_f16_e32 v30, v30, v34
	v_add_f16_e32 v32, v29, v31
	s_delay_alu instid0(VALU_DEP_2) | instskip(SKIP_2) | instid1(VALU_DEP_4)
	v_fma_f16 v22, v22, v64, -v30
	v_sub_f16_e32 v75, v29, v31
	v_lshlrev_b16 v29, 1, v12
	v_fmac_f16_e32 v74, -0.5, v32
	s_delay_alu instid0(VALU_DEP_4)
	v_add_f16_e32 v30, v18, v22
	v_sub_f16_e32 v18, v18, v22
	v_add_f16_e32 v22, v28, v22
	v_add_f16_e32 v28, v33, v31
	v_lshlrev_b16 v31, 1, v3
	v_fma_f16 v24, -0.5, v30, v24
	v_fmamk_f16 v27, v18, 0xbaee, v74
	v_lshlrev_b16 v30, 1, v7
	v_pack_b32_f16 v22, v22, v28
	v_lshlrev_b16 v28, 1, v16
	v_fmamk_f16 v26, v75, 0x3aee, v24
	v_and_b32_e32 v29, 0xffff, v29
	v_and_b32_e32 v30, 0xffff, v30
	;; [unrolled: 1-line block ×4, first 2 shown]
	v_pack_b32_f16 v76, v26, v27
	v_lshlrev_b16 v26, 1, v6
	v_lshlrev_b16 v27, 1, v17
	v_lshlrev_b32_e32 v29, 2, v29
	v_lshlrev_b32_e32 v28, 2, v28
	;; [unrolled: 1-line block ×3, first 2 shown]
	v_and_b32_e32 v26, 0xffff, v26
	v_and_b32_e32 v27, 0xffff, v27
	v_lshlrev_b32_e32 v31, 2, v31
	v_fmac_f16_e32 v74, 0x3aee, v18
	v_fmac_f16_e32 v24, 0xbaee, v75
	v_lshlrev_b32_e32 v26, 2, v26
	v_lshlrev_b32_e32 v27, 2, v27
	s_clause 0x5
	global_load_b64 v[67:68], v26, s[6:7]
	global_load_b64 v[61:62], v27, s[6:7]
	;; [unrolled: 1-line block ×6, first 2 shown]
	ds_load_2addr_b32 v[26:27], v160 offset0:72 offset1:172
	ds_load_2addr_b32 v[28:29], v84 offset0:48 offset1:148
	;; [unrolled: 1-line block ×12, first 2 shown]
	global_wb scope:SCOPE_SE
	s_wait_loadcnt_dscnt 0x0
	s_barrier_signal -1
	s_barrier_wait -1
	global_inv scope:SCOPE_SE
	ds_store_2addr_b32 v77, v22, v76 offset1:10
	v_lshrrev_b32_e32 v22, 16, v19
	v_lshrrev_b32_e32 v77, 16, v65
	v_pack_b32_f16 v24, v24, v74
	scratch_store_b32 off, v79, off offset:248 ; 4-byte Folded Spill
	v_mov_b32_e32 v74, v73
	v_mul_f16_e32 v76, v22, v77
	s_delay_alu instid0(VALU_DEP_1) | instskip(SKIP_2) | instid1(VALU_DEP_3)
	v_fma_f16 v76, v19, v65, -v76
	v_mul_f16_e32 v19, v19, v77
	v_lshrrev_b32_e32 v77, 16, v23
	v_add_f16_e32 v75, v25, v76
	s_delay_alu instid0(VALU_DEP_3) | instskip(NEXT) | instid1(VALU_DEP_3)
	v_fmac_f16_e32 v19, v22, v65
	v_mul_f16_e32 v78, v77, v81
	v_lshrrev_b32_e32 v22, 16, v25
	s_delay_alu instid0(VALU_DEP_2) | instskip(SKIP_1) | instid1(VALU_DEP_2)
	v_fma_f16 v78, v23, v66, -v78
	v_mul_f16_e32 v23, v23, v81
	v_add_f16_e32 v18, v76, v78
	s_delay_alu instid0(VALU_DEP_2) | instskip(NEXT) | instid1(VALU_DEP_2)
	v_fmac_f16_e32 v23, v77, v66
	v_fmac_f16_e32 v25, -0.5, v18
	v_add_f16_e32 v18, v22, v19
	s_delay_alu instid0(VALU_DEP_3) | instskip(SKIP_1) | instid1(VALU_DEP_3)
	v_add_f16_e32 v77, v19, v23
	v_sub_f16_e32 v19, v19, v23
	v_add_f16_e32 v18, v18, v23
	s_delay_alu instid0(VALU_DEP_3) | instskip(SKIP_2) | instid1(VALU_DEP_2)
	v_fmac_f16_e32 v22, -0.5, v77
	v_add_f16_e32 v23, v75, v78
	v_sub_f16_e32 v75, v76, v78
	v_pack_b32_f16 v18, v23, v18
	v_fmamk_f16 v23, v19, 0x3aee, v25
	s_delay_alu instid0(VALU_DEP_3)
	v_fmamk_f16 v71, v75, 0xbaee, v22
	v_fmac_f16_e32 v25, 0xbaee, v19
	v_fmac_f16_e32 v22, 0x3aee, v75
	v_lshrrev_b32_e32 v19, 16, v28
	v_lshrrev_b32_e32 v75, 16, v60
	v_pack_b32_f16 v23, v23, v71
	ds_store_b32 v79, v24 offset:80
	ds_store_2addr_b32 v73, v18, v23 offset1:10
	v_lshrrev_b32_e32 v23, 16, v59
	v_pack_b32_f16 v18, v25, v22
	v_mul_f16_e32 v24, v30, v75
	v_lshrrev_b32_e32 v25, 16, v26
	scratch_store_b32 off, v2, off offset:288 ; 4-byte Folded Spill
	v_mul_f16_e32 v22, v28, v23
	v_mov_b32_e32 v76, v23
	v_lshrrev_b32_e32 v23, 16, v30
	ds_store_b32 v74, v18 offset:80
	v_mad_u16 v18, v48, 30, v72
	v_fmac_f16_e32 v22, v19, v59
	v_mul_f16_e32 v19, v19, v76
	v_fmac_f16_e32 v24, v23, v60
	v_mul_f16_e32 v23, v23, v75
	v_and_b32_e32 v18, 0xffff, v18
	v_add_f16_e32 v71, v25, v22
	v_fma_f16 v19, v28, v59, -v19
	v_add_f16_e32 v73, v22, v24
	v_fma_f16 v23, v30, v60, -v23
	v_sub_f16_e32 v22, v22, v24
	v_add_f16_e32 v24, v71, v24
	v_add_f16_e32 v28, v26, v19
	v_fmac_f16_e32 v25, -0.5, v73
	v_add_f16_e32 v30, v19, v23
	v_sub_f16_e32 v19, v19, v23
	v_lshlrev_b32_e32 v18, 2, v18
	v_add_f16_e32 v28, v28, v23
	s_delay_alu instid0(VALU_DEP_2) | instskip(NEXT) | instid1(VALU_DEP_2)
	v_mov_b32_e32 v48, v18
	v_pack_b32_f16 v23, v28, v24
	v_fma_f16 v24, -0.5, v30, v26
	v_fmamk_f16 v28, v19, 0xbaee, v25
	v_lshrrev_b32_e32 v30, 16, v56
	v_fmac_f16_e32 v25, 0x3aee, v19
	v_lshrrev_b32_e32 v19, 16, v27
	v_fmamk_f16 v26, v22, 0x3aee, v24
	v_fmac_f16_e32 v24, 0xbaee, v22
	scratch_store_b32 off, v74, off offset:252 ; 4-byte Folded Spill
	v_pack_b32_f16 v26, v26, v28
	v_lshrrev_b32_e32 v28, 16, v31
	v_pack_b32_f16 v24, v24, v25
	ds_store_2addr_b32 v18, v23, v26 offset1:10
	v_lshrrev_b32_e32 v18, 16, v29
	v_lshrrev_b32_e32 v26, 16, v55
	ds_store_b32 v48, v24 offset:80
	v_mul_f16_e32 v23, v18, v26
	v_mul_f16_e32 v26, v29, v26
	s_delay_alu instid0(VALU_DEP_2) | instskip(SKIP_2) | instid1(VALU_DEP_4)
	v_fma_f16 v23, v29, v55, -v23
	v_mul_f16_e32 v29, v28, v30
	v_mul_f16_e32 v30, v31, v30
	v_fmac_f16_e32 v26, v18, v55
	s_delay_alu instid0(VALU_DEP_4) | instskip(NEXT) | instid1(VALU_DEP_4)
	v_add_f16_e32 v22, v27, v23
	v_fma_f16 v29, v31, v56, -v29
	s_delay_alu instid0(VALU_DEP_4) | instskip(NEXT) | instid1(VALU_DEP_2)
	v_fmac_f16_e32 v30, v28, v56
	v_add_f16_e32 v18, v23, v29
	s_delay_alu instid0(VALU_DEP_2) | instskip(SKIP_2) | instid1(VALU_DEP_4)
	v_add_f16_e32 v28, v26, v30
	v_add_f16_e32 v22, v22, v29
	v_sub_f16_e32 v23, v23, v29
	v_fmac_f16_e32 v27, -0.5, v18
	v_add_f16_e32 v18, v19, v26
	v_sub_f16_e32 v26, v26, v30
	v_fmac_f16_e32 v19, -0.5, v28
	v_mov_b32_e32 v28, v8
	scratch_store_b32 off, v48, off offset:256 ; 4-byte Folded Spill
	v_add_f16_e32 v18, v18, v30
	s_delay_alu instid0(VALU_DEP_1)
	v_pack_b32_f16 v9, v22, v18
	v_fmamk_f16 v18, v26, 0x3aee, v27
	v_fmamk_f16 v22, v23, 0xbaee, v19
	v_fmac_f16_e32 v27, 0xbaee, v26
	v_fmac_f16_e32 v19, 0x3aee, v23
	v_lshrrev_b32_e32 v23, 16, v32
	s_delay_alu instid0(VALU_DEP_4)
	v_pack_b32_f16 v18, v18, v22
	ds_store_2addr_b32 v8, v9, v18 offset1:10
	v_pack_b32_f16 v8, v27, v19
	v_lshrrev_b32_e32 v9, 16, v34
	ds_store_b32 v28, v8 offset:80
	v_lshrrev_b32_e32 v19, 16, v67
	v_lshrrev_b32_e32 v26, 16, v68
	;; [unrolled: 1-line block ×5, first 2 shown]
	v_mul_f16_e32 v18, v34, v19
	v_mov_b32_e32 v27, v19
	v_lshrrev_b32_e32 v19, 16, v36
	v_mul_f16_e32 v22, v36, v26
	v_lshrrev_b32_e32 v153, 16, v51
	v_fmac_f16_e32 v18, v9, v67
	v_mul_f16_e32 v9, v9, v27
	v_lshrrev_b32_e32 v156, 16, v52
	v_fmac_f16_e32 v22, v19, v68
	v_mul_f16_e32 v19, v19, v26
	v_add_f16_e32 v24, v23, v18
	v_fma_f16 v9, v34, v67, -v9
	v_mov_b32_e32 v26, v4
	scratch_store_b32 off, v28, off offset:260 ; 4-byte Folded Spill
	v_add_f16_e32 v25, v18, v22
	v_fma_f16 v19, v36, v68, -v19
	v_sub_f16_e32 v18, v18, v22
	v_add_f16_e32 v22, v24, v22
	v_add_f16_e32 v24, v32, v9
	v_fmac_f16_e32 v23, -0.5, v25
	v_add_f16_e32 v25, v9, v19
	v_sub_f16_e32 v9, v9, v19
	v_lshrrev_b32_e32 v141, 16, v49
	v_add_f16_e32 v24, v24, v19
	v_lshrrev_b32_e32 v143, 16, v50
	v_fma_f16 v8, -0.5, v25, v32
	v_lshrrev_b32_e32 v25, 16, v62
	s_delay_alu instid0(VALU_DEP_4) | instskip(SKIP_1) | instid1(VALU_DEP_4)
	v_pack_b32_f16 v6, v24, v22
	v_fmamk_f16 v22, v9, 0xbaee, v23
	v_fmamk_f16 v19, v18, 0x3aee, v8
	v_fmac_f16_e32 v8, 0xbaee, v18
	v_fmac_f16_e32 v23, 0x3aee, v9
	v_lshrrev_b32_e32 v9, 16, v33
	s_delay_alu instid0(VALU_DEP_4) | instskip(SKIP_1) | instid1(VALU_DEP_4)
	v_pack_b32_f16 v19, v19, v22
	v_lshrrev_b32_e32 v22, 16, v37
	v_pack_b32_f16 v8, v8, v23
	ds_store_2addr_b32 v4, v6, v19 offset1:10
	v_lshrrev_b32_e32 v4, 16, v35
	v_lshrrev_b32_e32 v19, 16, v61
	v_mul_f16_e32 v24, v22, v25
	v_mul_f16_e32 v25, v37, v25
	ds_store_b32 v26, v8 offset:80
	v_mad_u16 v8, v13, 30, v17
	v_mul_f16_e32 v6, v4, v19
	v_mul_f16_e32 v19, v35, v19
	v_fma_f16 v24, v37, v62, -v24
	v_fmac_f16_e32 v25, v22, v62
	v_and_b32_e32 v8, 0xffff, v8
	v_fma_f16 v6, v35, v61, -v6
	v_fmac_f16_e32 v19, v4, v61
	s_delay_alu instid0(VALU_DEP_3) | instskip(NEXT) | instid1(VALU_DEP_3)
	v_lshlrev_b32_e32 v8, 2, v8
	v_add_f16_e32 v4, v6, v24
	s_delay_alu instid0(VALU_DEP_3) | instskip(SKIP_2) | instid1(VALU_DEP_4)
	v_add_f16_e32 v22, v19, v25
	v_add_f16_e32 v18, v33, v6
	v_sub_f16_e32 v6, v6, v24
	v_fmac_f16_e32 v33, -0.5, v4
	v_add_f16_e32 v4, v9, v19
	v_sub_f16_e32 v19, v19, v25
	v_fmac_f16_e32 v9, -0.5, v22
	v_add_f16_e32 v18, v18, v24
	v_mov_b32_e32 v22, v8
	v_add_f16_e32 v4, v4, v25
	v_fmamk_f16 v13, v19, 0x3aee, v33
	v_fmamk_f16 v17, v6, 0xbaee, v9
	v_fmac_f16_e32 v33, 0xbaee, v19
	v_fmac_f16_e32 v9, 0x3aee, v6
	v_pack_b32_f16 v4, v18, v4
	v_lshrrev_b32_e32 v6, 16, v40
	v_pack_b32_f16 v13, v13, v17
	v_lshrrev_b32_e32 v17, 16, v38
	s_clause 0x1
	scratch_store_b32 off, v26, off offset:264
	scratch_store_b32 off, v22, off offset:268
	ds_store_2addr_b32 v8, v4, v13 offset1:10
	v_pack_b32_f16 v4, v33, v9
	v_lshrrev_b32_e32 v9, 16, v57
	v_mul_f16_e64 v13, v42, v200
	ds_store_b32 v22, v4 offset:80
	v_mul_f16_e32 v8, v40, v9
	v_mov_b32_e32 v23, v9
	v_lshrrev_b32_e32 v9, 16, v42
	v_mad_u16 v4, v14, 30, v16
	s_delay_alu instid0(VALU_DEP_4) | instskip(NEXT) | instid1(VALU_DEP_4)
	v_fmac_f16_e32 v8, v6, v57
	v_mul_f16_e32 v6, v6, v23
	s_delay_alu instid0(VALU_DEP_4)
	v_fmac_f16_e32 v13, v9, v58
	v_mul_f16_e64 v9, v9, v200
	v_and_b32_e32 v4, 0xffff, v4
	v_add_f16_e32 v18, v17, v8
	v_fma_f16 v6, v40, v57, -v6
	v_add_f16_e32 v19, v8, v13
	v_sub_f16_e32 v8, v8, v13
	v_fma_f16 v9, v42, v58, -v9
	v_add_f16_e32 v13, v18, v13
	v_add_f16_e32 v18, v38, v6
	v_fmac_f16_e32 v17, -0.5, v19
	v_lshlrev_b32_e32 v4, 2, v4
	v_add_f16_e32 v19, v6, v9
	v_sub_f16_e32 v6, v6, v9
	v_add_f16_e32 v18, v18, v9
	s_delay_alu instid0(VALU_DEP_4) | instskip(NEXT) | instid1(VALU_DEP_3)
	v_mov_b32_e32 v22, v4
	v_fmamk_f16 v16, v6, 0xbaee, v17
	s_delay_alu instid0(VALU_DEP_3) | instskip(SKIP_4) | instid1(VALU_DEP_4)
	v_pack_b32_f16 v9, v18, v13
	v_fma_f16 v13, -0.5, v19, v38
	v_mul_f16_e64 v19, v43, v186
	v_fmac_f16_e32 v17, 0x3aee, v6
	v_lshrrev_b32_e32 v6, 16, v39
	v_fmamk_f16 v14, v8, 0x3aee, v13
	v_fmac_f16_e32 v13, 0xbaee, v8
	s_delay_alu instid0(VALU_DEP_2) | instskip(SKIP_1) | instid1(VALU_DEP_3)
	v_pack_b32_f16 v14, v14, v16
	v_lshrrev_b32_e32 v16, 16, v43
	v_pack_b32_f16 v13, v13, v17
	ds_store_2addr_b32 v4, v9, v14 offset1:10
	v_lshrrev_b32_e32 v4, 16, v41
	v_mul_f16_e64 v18, v16, v186
	v_mul_f16_e64 v14, v41, v204
	v_fmac_f16_e32 v19, v16, v54
	ds_store_b32 v22, v13 offset:80
	v_mul_f16_e64 v9, v4, v204
	v_fma_f16 v18, v43, v54, -v18
	v_fmac_f16_e32 v14, v4, v53
	s_delay_alu instid0(VALU_DEP_3) | instskip(NEXT) | instid1(VALU_DEP_2)
	v_fma_f16 v9, v41, v53, -v9
	v_add_f16_e32 v16, v14, v19
	s_delay_alu instid0(VALU_DEP_2) | instskip(SKIP_2) | instid1(VALU_DEP_3)
	v_add_f16_e32 v4, v9, v18
	v_add_f16_e32 v8, v39, v9
	v_sub_f16_e32 v9, v9, v18
	v_fmac_f16_e32 v39, -0.5, v4
	v_add_f16_e32 v4, v6, v14
	v_sub_f16_e32 v14, v14, v19
	v_fmac_f16_e32 v6, -0.5, v16
	v_add_f16_e32 v8, v8, v18
	v_mov_b32_e32 v16, v11
	v_add_f16_e32 v4, v4, v19
	scratch_store_b32 off, v22, off offset:272 ; 4-byte Folded Spill
	v_fmamk_f16 v12, v9, 0xbaee, v6
	v_fmac_f16_e32 v6, 0x3aee, v9
	v_lshrrev_b32_e32 v9, 16, v69
	v_pack_b32_f16 v4, v8, v4
	v_fmamk_f16 v8, v14, 0x3aee, v39
	v_fmac_f16_e32 v39, 0xbaee, v14
	s_delay_alu instid0(VALU_DEP_2)
	v_pack_b32_f16 v8, v8, v12
	v_lshrrev_b32_e32 v12, 16, v44
	ds_store_2addr_b32 v11, v4, v8 offset1:10
	v_pack_b32_f16 v4, v39, v6
	v_lshrrev_b32_e32 v6, 16, v46
	v_mul_f16_e64 v8, v46, v153
	v_mul_f16_e64 v11, v69, v156
	ds_store_b32 v16, v4 offset:80
	v_mad_u16 v4, v5, 30, v7
	v_fmac_f16_e32 v8, v6, v51
	v_fmac_f16_e32 v11, v9, v52
	v_mul_f16_e64 v6, v6, v153
	v_mul_f16_e64 v9, v9, v156
	v_and_b32_e32 v4, 0xffff, v4
	v_add_f16_e32 v13, v12, v8
	v_add_f16_e32 v14, v8, v11
	v_fma_f16 v6, v46, v51, -v6
	v_fma_f16 v9, v69, v52, -v9
	v_sub_f16_e32 v8, v8, v11
	v_add_f16_e32 v11, v13, v11
	v_fmac_f16_e32 v12, -0.5, v14
	v_add_f16_e32 v13, v44, v6
	v_add_f16_e32 v14, v6, v9
	v_sub_f16_e32 v6, v6, v9
	v_lshlrev_b32_e32 v4, 2, v4
	s_delay_alu instid0(VALU_DEP_4) | instskip(NEXT) | instid1(VALU_DEP_4)
	v_add_f16_e32 v13, v13, v9
	v_fma_f16 v7, -0.5, v14, v44
	v_mul_f16_e64 v14, v70, v143
	s_delay_alu instid0(VALU_DEP_4)
	v_mov_b32_e32 v18, v4
	scratch_store_b32 off, v16, off offset:276 ; 4-byte Folded Spill
	v_pack_b32_f16 v5, v13, v11
	v_fmamk_f16 v9, v8, 0x3aee, v7
	v_fmamk_f16 v11, v6, 0xbaee, v12
	scratch_store_b32 off, v18, off offset:280 ; 4-byte Folded Spill
	v_fmac_f16_e32 v7, 0xbaee, v8
	v_fmac_f16_e32 v12, 0x3aee, v6
	v_pack_b32_f16 v9, v9, v11
	v_lshrrev_b32_e32 v11, 16, v70
	s_delay_alu instid0(VALU_DEP_3)
	v_pack_b32_f16 v7, v7, v12
	ds_store_2addr_b32 v4, v5, v9 offset1:10
	v_lshrrev_b32_e32 v4, 16, v47
	v_mul_f16_e64 v13, v11, v143
	v_mul_f16_e64 v9, v47, v141
	v_fmac_f16_e32 v14, v11, v50
	v_lshrrev_b32_e32 v11, 16, v45
	v_mul_f16_e64 v5, v4, v141
	v_fma_f16 v13, v70, v50, -v13
	v_fmac_f16_e32 v9, v4, v49
	ds_store_b32 v18, v7 offset:80
	v_fma_f16 v5, v47, v49, -v5
	v_add_f16_e32 v17, v11, v9
	s_delay_alu instid0(VALU_DEP_2) | instskip(SKIP_1) | instid1(VALU_DEP_3)
	v_add_f16_e32 v4, v5, v13
	v_add_f16_e32 v16, v45, v5
	v_add_f16_e32 v6, v17, v14
	s_delay_alu instid0(VALU_DEP_3) | instskip(SKIP_1) | instid1(VALU_DEP_4)
	v_fmac_f16_e32 v45, -0.5, v4
	v_add_f16_e32 v4, v9, v14
	v_add_f16_e32 v8, v16, v13
	s_delay_alu instid0(VALU_DEP_2) | instskip(SKIP_1) | instid1(VALU_DEP_3)
	v_fmac_f16_e32 v11, -0.5, v4
	v_sub_f16_e32 v4, v9, v14
	v_pack_b32_f16 v3, v8, v6
	s_delay_alu instid0(VALU_DEP_2) | instskip(SKIP_2) | instid1(VALU_DEP_1)
	v_fmamk_f16 v9, v4, 0x3aee, v45
	v_fmac_f16_e32 v45, 0xbaee, v4
	v_sub_f16_e32 v4, v5, v13
	v_fmamk_f16 v5, v4, 0xbaee, v11
	v_fmac_f16_e32 v11, 0x3aee, v4
	s_delay_alu instid0(VALU_DEP_2) | instskip(NEXT) | instid1(VALU_DEP_2)
	v_pack_b32_f16 v5, v9, v5
	v_pack_b32_f16 v4, v45, v11
	ds_store_2addr_b32 v2, v3, v5 offset1:10
	ds_store_b32 v2, v4 offset:80
	v_mul_u32_u24_e32 v2, 0x8889, v10
	global_wb scope:SCOPE_SE
	s_wait_storecnt_dscnt 0x0
	s_barrier_signal -1
	s_barrier_wait -1
	global_inv scope:SCOPE_SE
	v_lshrrev_b32_e32 v28, 20, v2
	s_delay_alu instid0(VALU_DEP_1) | instskip(NEXT) | instid1(VALU_DEP_1)
	v_mul_lo_u16 v2, v28, 30
	v_sub_nc_u16 v29, v0, v2
	v_mul_lo_u16 v0, 0x89, v1
	s_delay_alu instid0(VALU_DEP_1) | instskip(NEXT) | instid1(VALU_DEP_1)
	v_lshrrev_b16 v39, 12, v0
	v_mul_lo_u16 v0, v39, 30
	v_and_b32_e32 v39, 0xffff, v39
	s_delay_alu instid0(VALU_DEP_2) | instskip(SKIP_1) | instid1(VALU_DEP_3)
	v_sub_nc_u16 v16, v20, v0
	v_mul_lo_u16 v0, v29, 36
	v_mul_u32_u24_e32 v39, 0x12c, v39
	s_delay_alu instid0(VALU_DEP_2) | instskip(NEXT) | instid1(VALU_DEP_1)
	v_and_b32_e32 v0, 0xffff, v0
	v_add_co_u32 v0, s2, s6, v0
	s_wait_alu 0xf1ff
	v_add_co_ci_u32_e64 v1, null, s7, 0, s2
	s_clause 0x2
	global_load_b32 v161, v[0:1], off offset:112
	global_load_b128 v[207:210], v[0:1], off offset:80
	global_load_b128 v[211:214], v[0:1], off offset:96
	ds_load_2addr_b32 v[9:10], v148 offset0:120 offset1:220
	ds_load_2addr_b32 v[13:14], v157 offset0:32 offset1:132
	;; [unrolled: 1-line block ×8, first 2 shown]
	s_add_nc_u64 s[2:3], s[4:5], 0x2ee0
	s_wait_dscnt 0x7
	v_lshrrev_b32_e32 v0, 16, v9
	s_wait_dscnt 0x4
	v_lshrrev_b32_e32 v41, 16, v22
	s_wait_dscnt 0x3
	v_lshrrev_b32_e32 v187, 16, v94
	s_wait_dscnt 0x2
	v_lshrrev_b32_e32 v21, 16, v92
	s_wait_loadcnt 0x2
	v_lshrrev_b32_e32 v4, 16, v161
	s_wait_loadcnt 0x1
	v_lshrrev_b32_e32 v1, 16, v210
	v_lshrrev_b32_e32 v2, 16, v208
	s_wait_loadcnt 0x0
	v_lshrrev_b32_e32 v3, 16, v214
	v_lshrrev_b32_e32 v126, 16, v211
	;; [unrolled: 1-line block ×3, first 2 shown]
	v_mul_f16_e32 v30, v9, v1
	v_mul_f16_e32 v31, v13, v2
	v_lshrrev_b32_e32 v215, 16, v207
	v_mul_f16_e32 v47, v95, v126
	v_lshrrev_b32_e32 v216, 16, v209
	v_fmac_f16_e64 v30, v0, v210
	v_mul_f16_e32 v0, v0, v1
	v_lshrrev_b32_e32 v1, 16, v13
	v_mul_f16_e64 v42, v93, v215
	s_wait_dscnt 0x1
	v_mul_f16_e64 v48, v99, v216
	s_wait_dscnt 0x0
	v_mul_f16_e32 v71, v101, v4
	v_fma_f16 v38, v9, v210, -v0
	ds_load_2addr_b32 v[8:9], v159 offset0:40 offset1:140
	v_fmac_f16_e64 v31, v1, v208
	v_mul_f16_e32 v1, v1, v2
	v_lshrrev_b32_e32 v2, 16, v212
	v_lshrrev_b32_e32 v0, 16, v11
	s_delay_alu instid0(VALU_DEP_3) | instskip(NEXT) | instid1(VALU_DEP_3)
	v_fma_f16 v13, v13, v208, -v1
	v_mul_f16_e32 v36, v11, v2
	s_delay_alu instid0(VALU_DEP_2) | instskip(NEXT) | instid1(VALU_DEP_2)
	v_add_f16_e32 v46, v22, v13
	v_fmac_f16_e64 v36, v0, v212
	v_mul_f16_e32 v0, v0, v2
	s_delay_alu instid0(VALU_DEP_2) | instskip(NEXT) | instid1(VALU_DEP_2)
	v_sub_f16_e32 v78, v30, v36
	v_fma_f16 v11, v11, v212, -v0
	s_wait_dscnt 0x0
	v_lshrrev_b32_e32 v2, 16, v8
	v_mul_f16_e32 v37, v8, v3
	s_delay_alu instid0(VALU_DEP_3) | instskip(NEXT) | instid1(VALU_DEP_2)
	v_add_f16_e32 v0, v38, v11
	v_fmac_f16_e64 v37, v2, v214
	v_mul_f16_e32 v2, v2, v3
	v_lshrrev_b32_e32 v3, 16, v101
	s_delay_alu instid0(VALU_DEP_4) | instskip(NEXT) | instid1(VALU_DEP_4)
	v_fma_f16 v40, -0.5, v0, v22
	v_sub_f16_e32 v80, v31, v37
	s_delay_alu instid0(VALU_DEP_4)
	v_fma_f16 v8, v8, v214, -v2
	v_lshrrev_b32_e32 v2, 16, v99
	v_fmac_f16_e64 v71, v3, v161
	v_mul_f16_e32 v3, v3, v4
	v_mov_b32_e32 v4, v105
	v_add_f16_e32 v0, v13, v8
	v_sub_f16_e32 v1, v11, v8
	v_fmac_f16_e64 v48, v2, v209
	v_mul_f16_e64 v2, v2, v216
	v_fma_f16 v73, v101, v161, -v3
	v_fmac_f16_e32 v22, -0.5, v0
	v_sub_f16_e32 v0, v38, v13
	v_sub_f16_e32 v82, v48, v71
	v_fma_f16 v74, v99, v209, -v2
	v_lshrrev_b32_e32 v2, 16, v23
	v_fmamk_f16 v77, v78, 0xbb9c, v22
	v_add_f16_e32 v43, v0, v1
	v_lshrrev_b32_e32 v1, 16, v95
	v_lshrrev_b32_e32 v0, 16, v93
	v_sub_f16_e32 v83, v74, v73
	v_fmac_f16_e32 v22, 0x3b9c, v78
	v_fmac_f16_e32 v77, 0x38b4, v80
	v_fmac_f16_e64 v47, v1, v211
	v_mul_f16_e32 v1, v1, v126
	v_fmac_f16_e64 v42, v0, v207
	v_mul_f16_e64 v0, v0, v215
	v_fmac_f16_e32 v22, 0xb8b4, v80
	v_fmac_f16_e32 v77, 0x34f2, v43
	v_fma_f16 v70, v95, v211, -v1
	ds_load_2addr_b32 v[95:96], v137 offset0:152 offset1:252
	v_fma_f16 v44, v93, v207, -v0
	v_add_f16_e32 v89, v42, v48
	v_fmac_f16_e32 v22, 0x34f2, v43
	s_delay_alu instid0(VALU_DEP_3) | instskip(SKIP_4) | instid1(VALU_DEP_2)
	v_add_f16_e32 v88, v44, v74
	s_wait_dscnt 0x0
	v_lshrrev_b32_e32 v1, 16, v96
	v_mul_f16_e64 v69, v96, v205
	v_lshrrev_b32_e32 v191, 16, v95
	v_fmac_f16_e64 v69, v1, v213
	v_mul_f16_e64 v1, v1, v205
	s_delay_alu instid0(VALU_DEP_2) | instskip(NEXT) | instid1(VALU_DEP_2)
	v_sub_f16_e32 v79, v47, v69
	v_fma_f16 v72, v96, v213, -v1
	s_delay_alu instid0(VALU_DEP_1) | instskip(SKIP_2) | instid1(VALU_DEP_3)
	v_add_f16_e32 v0, v70, v72
	v_sub_f16_e32 v1, v72, v73
	v_sub_f16_e32 v81, v70, v72
	v_fma_f16 v45, -0.5, v0, v44
	v_add_f16_e32 v0, v74, v73
	s_delay_alu instid0(VALU_DEP_1) | instskip(SKIP_1) | instid1(VALU_DEP_2)
	v_fmac_f16_e32 v44, -0.5, v0
	v_sub_f16_e32 v0, v70, v74
	v_fmamk_f16 v86, v79, 0xbb9c, v44
	s_delay_alu instid0(VALU_DEP_2) | instskip(SKIP_4) | instid1(VALU_DEP_4)
	v_add_f16_e32 v76, v0, v1
	v_add_f16_e32 v0, v47, v69
	v_sub_f16_e32 v1, v69, v71
	v_fmac_f16_e32 v44, 0x3b9c, v79
	v_fmac_f16_e32 v86, 0x38b4, v82
	v_fma_f16 v75, -0.5, v0, v42
	v_add_f16_e32 v0, v48, v71
	s_delay_alu instid0(VALU_DEP_4) | instskip(NEXT) | instid1(VALU_DEP_4)
	v_fmac_f16_e32 v44, 0xb8b4, v82
	v_fmac_f16_e32 v86, 0x34f2, v76
	s_delay_alu instid0(VALU_DEP_3) | instskip(SKIP_1) | instid1(VALU_DEP_4)
	v_fmac_f16_e32 v42, -0.5, v0
	v_sub_f16_e32 v0, v47, v48
	v_fmac_f16_e32 v44, 0x34f2, v76
	s_delay_alu instid0(VALU_DEP_3) | instskip(NEXT) | instid1(VALU_DEP_3)
	v_fmamk_f16 v87, v81, 0x3b9c, v42
	v_add_f16_e32 v85, v0, v1
	v_and_b32_e32 v0, 0xff, v16
	v_fmac_f16_e32 v42, 0xbb9c, v81
	v_mul_f16_e32 v1, 0xb4f2, v44
	v_fmac_f16_e32 v87, 0xb8b4, v83
	s_delay_alu instid0(VALU_DEP_4)
	v_mad_co_u64_u32 v[32:33], null, v0, 36, s[6:7]
	s_clause 0x1
	global_load_b128 v[24:27], v[32:33], off offset:80
	global_load_b128 v[122:125], v[32:33], off offset:96
	v_fmac_f16_e32 v42, 0x38b4, v83
	global_load_b32 v222, v[32:33], off offset:112
	v_fmac_f16_e32 v87, 0x34f2, v85
	v_fmac_f16_e32 v42, 0x34f2, v85
	v_mov_b32_e32 v85, v4
	s_delay_alu instid0(VALU_DEP_2) | instskip(NEXT) | instid1(VALU_DEP_1)
	v_fmac_f16_e32 v1, 0x3b9c, v42
	v_add_f16_e32 v91, v22, v1
	v_sub_f16_e32 v90, v22, v1
	s_wait_loadcnt 0x2
	v_lshrrev_b32_e32 v244, 16, v24
	v_lshrrev_b32_e32 v241, 16, v26
	s_wait_loadcnt 0x1
	v_lshrrev_b32_e32 v225, 16, v122
	v_lshrrev_b32_e32 v224, 16, v124
	s_wait_loadcnt 0x0
	v_lshrrev_b32_e32 v223, 16, v222
	v_mul_f16_e64 v1, v23, v244
	v_mul_f16_e64 v3, v2, v244
	;; [unrolled: 1-line block ×5, first 2 shown]
	v_fmac_f16_e32 v1, v2, v24
	v_lshrrev_b32_e32 v2, 16, v14
	v_lshrrev_b32_e32 v250, 16, v25
	v_fma_f16 v3, v23, v24, -v3
	v_lshrrev_b32_e32 v23, 16, v98
	v_lshrrev_b32_e32 v252, 16, v27
	v_mul_f16_e64 v20, v2, v241
	v_fmac_f16_e32 v96, v2, v26
	v_and_b32_e32 v2, 0xff, v15
	v_lshrrev_b32_e32 v232, 16, v123
	v_lshrrev_b32_e32 v235, 16, v125
	v_fma_f16 v93, v14, v26, -v20
	v_lshrrev_b32_e32 v14, 16, v10
	v_add_f16_e64 v140, v1, v96
	s_delay_alu instid0(VALU_DEP_2) | instskip(SKIP_2) | instid1(VALU_DEP_3)
	v_mul_f16_e64 v20, v14, v225
	v_fmac_f16_e32 v101, v14, v122
	v_mad_co_u64_u32 v[14:15], null, v2, 36, s[6:7]
	v_fma_f16 v99, v10, v122, -v20
	v_lshrrev_b32_e32 v10, 16, v12
	s_delay_alu instid0(VALU_DEP_4) | instskip(SKIP_2) | instid1(VALU_DEP_1)
	v_add_f16_e64 v140, v140, v101
	global_load_b128 v[32:35], v[14:15], off offset:80
	v_mul_f16_e64 v20, v10, v224
	v_fma_f16 v103, v12, v124, -v20
	v_mul_f16_e64 v12, v12, v224
	v_lshrrev_b32_e32 v20, 16, v9
	s_delay_alu instid0(VALU_DEP_3) | instskip(NEXT) | instid1(VALU_DEP_3)
	v_sub_f16_e64 v166, v99, v103
	v_fmac_f16_e32 v12, v10, v124
	s_delay_alu instid0(VALU_DEP_3) | instskip(SKIP_1) | instid1(VALU_DEP_3)
	v_mul_f16_e64 v10, v20, v223
	v_fmac_f16_e64 v110, v20, v222
	v_sub_f16_e64 v167, v101, v12
	s_delay_alu instid0(VALU_DEP_3) | instskip(NEXT) | instid1(VALU_DEP_3)
	v_fma_f16 v107, v9, v222, -v10
	v_sub_f16_e64 v142, v110, v12
	v_sub_f16_e64 v133, v96, v110
	v_add_f16_e64 v140, v140, v12
	s_delay_alu instid0(VALU_DEP_4) | instskip(SKIP_1) | instid1(VALU_DEP_3)
	v_sub_f16_e64 v145, v107, v103
	v_sub_f16_e64 v132, v93, v107
	v_add_f16_e64 v140, v140, v110
	s_wait_loadcnt 0x0
	v_lshrrev_b32_e32 v238, 16, v32
	v_lshrrev_b32_e32 v243, 16, v33
	;; [unrolled: 1-line block ×4, first 2 shown]
	s_delay_alu instid0(VALU_DEP_4) | instskip(NEXT) | instid1(VALU_DEP_1)
	v_mul_f16_e64 v9, v21, v238
	v_fma_f16 v111, v92, v32, -v9
	ds_load_2addr_b32 v[9:10], v105 offset0:88 offset1:188
	v_mul_f16_e64 v92, v92, v238
	s_delay_alu instid0(VALU_DEP_1) | instskip(SKIP_4) | instid1(VALU_DEP_2)
	v_fmac_f16_e32 v92, v21, v32
	s_wait_dscnt 0x0
	v_lshrrev_b32_e32 v22, 16, v9
	v_mul_f16_e64 v113, v9, v250
	v_mul_f16_e64 v118, v10, v243
	v_fmac_f16_e32 v113, v22, v25
	v_mul_f16_e64 v22, v22, v250
	s_delay_alu instid0(VALU_DEP_1) | instskip(SKIP_1) | instid1(VALU_DEP_1)
	v_fma_f16 v114, v9, v25, -v22
	v_lshrrev_b32_e32 v22, 16, v10
	v_mul_f16_e64 v9, v22, v243
	v_fmac_f16_e32 v118, v22, v33
	s_delay_alu instid0(VALU_DEP_2) | instskip(SKIP_1) | instid1(VALU_DEP_1)
	v_fma_f16 v115, v10, v33, -v9
	v_mul_f16_e64 v9, v23, v239
	v_fma_f16 v121, v98, v34, -v9
	ds_load_2addr_b32 v[9:10], v84 offset0:48 offset1:148
	v_mul_f16_e64 v98, v98, v239
	v_add_f16_e64 v233, v111, v121
	s_delay_alu instid0(VALU_DEP_2) | instskip(NEXT) | instid1(VALU_DEP_1)
	v_fmac_f16_e32 v98, v23, v34
	v_add_f16_e64 v240, v92, v98
	s_wait_dscnt 0x0
	v_lshrrev_b32_e32 v158, 16, v9
	v_mul_f16_e64 v181, v9, v252
	v_mul_f16_e64 v184, v10, v245
	s_delay_alu instid0(VALU_DEP_2) | instskip(SKIP_1) | instid1(VALU_DEP_1)
	v_fmac_f16_e64 v181, v158, v27
	v_mul_f16_e64 v158, v158, v252
	v_fma_f16 v158, v9, v27, -v158
	v_lshrrev_b32_e32 v9, 16, v10
	s_delay_alu instid0(VALU_DEP_1) | instskip(SKIP_1) | instid1(VALU_DEP_2)
	v_mul_f16_e64 v177, v9, v245
	v_fmac_f16_e64 v184, v9, v35
	v_fma_f16 v183, v10, v35, -v177
	s_clause 0x1
	global_load_b32 v177, v[14:15], off offset:112
	global_load_b128 v[20:23], v[14:15], off offset:96
	s_wait_loadcnt 0x1
	v_lshrrev_b32_e32 v5, 16, v177
	s_wait_loadcnt 0x0
	v_lshrrev_b32_e32 v228, 16, v20
	v_lshrrev_b32_e32 v231, 16, v21
	;; [unrolled: 1-line block ×4, first 2 shown]
	s_delay_alu instid0(VALU_DEP_4) | instskip(SKIP_1) | instid1(VALU_DEP_2)
	v_mul_f16_e64 v9, v187, v228
	v_mul_f16_e64 v15, v94, v228
	v_fma_f16 v14, v94, v20, -v9
	ds_load_2addr_b32 v[9:10], v144 offset0:8 offset1:108
	v_fmac_f16_e64 v15, v187, v20
	s_wait_dscnt 0x0
	v_lshrrev_b32_e32 v94, 16, v9
	v_mul_f16_e64 v189, v9, v232
	v_lshrrev_b32_e32 v190, 16, v10
	v_mul_f16_e64 v201, v10, v231
	s_delay_alu instid0(VALU_DEP_3) | instskip(SKIP_1) | instid1(VALU_DEP_3)
	v_fmac_f16_e64 v189, v94, v123
	v_mul_f16_e64 v94, v94, v232
	v_fmac_f16_e64 v201, v190, v21
	s_delay_alu instid0(VALU_DEP_3) | instskip(NEXT) | instid1(VALU_DEP_3)
	v_add_f16_e64 v162, v181, v189
	v_fma_f16 v94, v9, v123, -v94
	v_mul_f16_e64 v9, v190, v231
	s_delay_alu instid0(VALU_DEP_4) | instskip(SKIP_1) | instid1(VALU_DEP_4)
	v_sub_f16_e64 v246, v184, v201
	v_sub_f16_e64 v170, v181, v189
	;; [unrolled: 1-line block ×3, first 2 shown]
	s_delay_alu instid0(VALU_DEP_4) | instskip(SKIP_1) | instid1(VALU_DEP_2)
	v_fma_f16 v192, v10, v21, -v9
	v_mul_f16_e64 v9, v191, v229
	v_add_f16_e64 v187, v183, v192
	s_delay_alu instid0(VALU_DEP_2) | instskip(SKIP_3) | instid1(VALU_DEP_2)
	v_fma_f16 v217, v95, v22, -v9
	ds_load_2addr_b32 v[9:10], v117 offset0:96 offset1:196
	v_mul_f16_e64 v95, v95, v229
	v_sub_f16_e64 v254, v14, v217
	v_fmac_f16_e64 v95, v191, v22
	s_delay_alu instid0(VALU_DEP_1) | instskip(SKIP_4) | instid1(VALU_DEP_2)
	v_sub_f16_e64 v248, v15, v95
	s_wait_dscnt 0x0
	v_lshrrev_b32_e32 v179, 16, v9
	v_mul_f16_e64 v206, v9, v235
	v_mul_f16_e64 v220, v10, v234
	v_fmac_f16_e64 v206, v179, v125
	v_mul_f16_e64 v179, v179, v235
	s_delay_alu instid0(VALU_DEP_2) | instskip(NEXT) | instid1(VALU_DEP_2)
	v_sub_f16_e64 v150, v206, v189
	v_fma_f16 v218, v9, v125, -v179
	v_lshrrev_b32_e32 v9, 16, v10
	s_delay_alu instid0(VALU_DEP_2) | instskip(NEXT) | instid1(VALU_DEP_2)
	v_sub_f16_e64 v154, v218, v94
	v_mul_f16_e64 v179, v9, v234
	v_fmac_f16_e64 v220, v9, v23
	v_add_f16_e64 v152, v114, v218
	v_sub_f16_e64 v171, v114, v218
	s_delay_alu instid0(VALU_DEP_4) | instskip(SKIP_2) | instid1(VALU_DEP_3)
	v_fma_f16 v219, v10, v23, -v179
	v_lshrrev_b32_e32 v10, 16, v100
	v_sub_f16_e64 v253, v118, v220
	v_add_f16_e64 v190, v115, v219
	s_delay_alu instid0(VALU_DEP_3) | instskip(SKIP_1) | instid1(VALU_DEP_2)
	v_mul_f16_e64 v221, v10, v5
	v_sub_f16_e64 v191, v192, v219
	v_fma_f16 v221, v100, v177, -v221
	v_mul_f16_e32 v100, v100, v5
	s_delay_alu instid0(VALU_DEP_2) | instskip(NEXT) | instid1(VALU_DEP_2)
	v_sub_f16_e64 v236, v217, v221
	v_fmac_f16_e64 v100, v10, v177
	ds_load_2addr_b32 v[9:10], v147 offset1:100
	v_sub_f16_e64 v138, v121, v221
	global_wb scope:SCOPE_SE
	s_wait_dscnt 0x0
	s_barrier_signal -1
	v_sub_f16_e64 v251, v98, v100
	v_sub_f16_e64 v242, v95, v100
	s_barrier_wait -1
	global_inv scope:SCOPE_SE
	v_fma_f16 v187, -0.5, v187, v10
	v_lshrrev_b32_e32 v226, 16, v10
	v_add_f16_e64 v227, v10, v115
	v_fmac_f16_e64 v10, -0.5, v190
	v_sub_f16_e64 v190, v183, v115
	v_fma_f16 v152, -0.5, v152, v9
	v_lshrrev_b32_e32 v129, 16, v9
	s_delay_alu instid0(VALU_DEP_4) | instskip(NEXT) | instid1(VALU_DEP_4)
	v_fma_f16 v247, 0xbb9c, v246, v10
	v_add_f16_e64 v190, v190, v191
	v_add_f16_e64 v191, v14, v217
	v_fmac_f16_e64 v10, 0x3b9c, v246
	v_fma_f16 v162, -0.5, v162, v129
	v_fmac_f16_e64 v247, 0x38b4, v253
	s_delay_alu instid0(VALU_DEP_4)
	v_fma_f16 v230, -0.5, v191, v111
	v_add_f16_e64 v191, v121, v221
	v_fmac_f16_e64 v10, 0xb8b4, v253
	v_fma_f16 v172, 0xbb9c, v171, v162
	v_fmac_f16_e64 v162, 0x3b9c, v171
	v_fmac_f16_e64 v247, 0x34f2, v190
	v_fmac_f16_e64 v111, -0.5, v191
	v_sub_f16_e64 v191, v14, v121
	v_fmac_f16_e64 v10, 0x34f2, v190
	v_fmac_f16_e64 v172, 0xb8b4, v135
	;; [unrolled: 1-line block ×3, first 2 shown]
	v_fma_f16 v249, 0xbb9c, v248, v111
	v_add_f16_e64 v236, v191, v236
	v_add_f16_e64 v191, v15, v95
	v_fmac_f16_e64 v111, 0x3b9c, v248
	s_delay_alu instid0(VALU_DEP_4) | instskip(NEXT) | instid1(VALU_DEP_3)
	v_fmac_f16_e64 v249, 0x38b4, v251
	v_fma_f16 v237, -0.5, v191, v92
	v_add_f16_e64 v191, v98, v100
	s_delay_alu instid0(VALU_DEP_4) | instskip(NEXT) | instid1(VALU_DEP_4)
	v_fmac_f16_e64 v111, 0xb8b4, v251
	v_fmac_f16_e64 v249, 0x34f2, v236
	s_delay_alu instid0(VALU_DEP_3) | instskip(SKIP_1) | instid1(VALU_DEP_4)
	v_fmac_f16_e64 v92, -0.5, v191
	v_sub_f16_e64 v191, v15, v98
	v_fmac_f16_e64 v111, 0x34f2, v236
	s_delay_alu instid0(VALU_DEP_3) | instskip(SKIP_1) | instid1(VALU_DEP_4)
	v_fma_f16 v255, 0x3b9c, v254, v92
	v_fmac_f16_e64 v92, 0xbb9c, v254
	v_add_f16_e64 v242, v191, v242
	v_add_f16_e64 v191, v158, v94
	s_delay_alu instid0(VALU_DEP_4) | instskip(NEXT) | instid1(VALU_DEP_4)
	v_fmac_f16_e64 v255, 0xb8b4, v138
	v_fmac_f16_e64 v92, 0x38b4, v138
	s_delay_alu instid0(VALU_DEP_3) | instskip(SKIP_2) | instid1(VALU_DEP_4)
	v_fma_f16 v139, -0.5, v191, v9
	v_mul_f16_e64 v191, 0xb4f2, v111
	v_add_f16_e32 v9, v9, v114
	v_fmac_f16_e64 v92, 0x34f2, v242
	v_fmac_f16_e64 v255, 0x34f2, v242
	s_delay_alu instid0(VALU_DEP_2) | instskip(SKIP_1) | instid1(VALU_DEP_2)
	v_fmac_f16_e64 v191, 0x3b9c, v92
	v_mul_f16_e32 v92, 0xb4f2, v92
	v_add_f16_e64 v128, v10, v191
	v_sub_f16_e64 v10, v10, v191
	v_sub_f16_e64 v191, v114, v158
	s_delay_alu instid0(VALU_DEP_4) | instskip(NEXT) | instid1(VALU_DEP_2)
	v_fmac_f16_e32 v92, 0xbb9c, v111
	v_add_f16_e64 v154, v191, v154
	v_sub_f16_e64 v191, v113, v181
	s_delay_alu instid0(VALU_DEP_1) | instskip(SKIP_1) | instid1(VALU_DEP_2)
	v_add_f16_e64 v150, v191, v150
	v_sub_f16_e64 v191, v93, v99
	v_fmac_f16_e64 v172, 0x34f2, v150
	s_delay_alu instid0(VALU_DEP_2) | instskip(SKIP_2) | instid1(VALU_DEP_2)
	v_add_f16_e64 v145, v191, v145
	v_sub_f16_e64 v191, v96, v101
	v_fmac_f16_e64 v162, 0x34f2, v150
	v_add_f16_e64 v142, v191, v142
	v_add_f16_e64 v191, v99, v103
	s_delay_alu instid0(VALU_DEP_1) | instskip(SKIP_2) | instid1(VALU_DEP_3)
	v_fma_f16 v130, -0.5, v191, v3
	v_add_f16_e64 v191, v101, v12
	v_sub_f16_e32 v12, v12, v110
	v_fma_f16 v134, 0x3b9c, v133, v130
	s_delay_alu instid0(VALU_DEP_3) | instskip(SKIP_1) | instid1(VALU_DEP_3)
	v_fma_f16 v131, -0.5, v191, v1
	v_fmac_f16_e64 v130, 0xbb9c, v133
	v_fmac_f16_e64 v134, 0x38b4, v167
	s_delay_alu instid0(VALU_DEP_3) | instskip(SKIP_1) | instid1(VALU_DEP_4)
	v_fma_f16 v191, 0xbb9c, v132, v131
	v_fmac_f16_e64 v131, 0x3b9c, v132
	v_fmac_f16_e64 v130, 0xb8b4, v167
	s_delay_alu instid0(VALU_DEP_4) | instskip(NEXT) | instid1(VALU_DEP_4)
	v_fmac_f16_e64 v134, 0x34f2, v145
	v_fmac_f16_e64 v191, 0xb8b4, v166
	s_delay_alu instid0(VALU_DEP_4) | instskip(NEXT) | instid1(VALU_DEP_4)
	v_fmac_f16_e64 v131, 0x38b4, v166
	v_fmac_f16_e64 v130, 0x34f2, v145
	s_delay_alu instid0(VALU_DEP_3) | instskip(NEXT) | instid1(VALU_DEP_3)
	v_fmac_f16_e64 v191, 0x34f2, v142
	v_fmac_f16_e64 v131, 0x34f2, v142
	s_delay_alu instid0(VALU_DEP_2) | instskip(NEXT) | instid1(VALU_DEP_1)
	v_mul_f16_e64 v168, 0x38b4, v191
	v_fmac_f16_e64 v168, 0x3a79, v134
	v_mul_f16_e64 v134, 0xb8b4, v134
	s_delay_alu instid0(VALU_DEP_1)
	v_fmac_f16_e64 v134, 0x3a79, v191
	v_add_lshl_u32 v191, v39, v0, 2
	v_add_f16_e64 v0, v9, v158
	v_add_f16_e64 v9, v129, v113
	v_add_f16_e32 v39, v3, v93
	v_add_f16_e64 v174, v172, v134
	s_delay_alu instid0(VALU_DEP_4) | instskip(NEXT) | instid1(VALU_DEP_4)
	v_add_f16_e32 v0, v0, v94
	v_add_f16_e64 v9, v9, v181
	s_delay_alu instid0(VALU_DEP_4)
	v_add_f16_e32 v39, v39, v99
	v_sub_f16_e64 v94, v94, v218
	v_sub_f16_e32 v99, v99, v93
	v_add_f16_e64 v0, v0, v218
	v_add_f16_e64 v9, v9, v189
	v_add_f16_e32 v39, v39, v103
	v_add_f16_e32 v93, v93, v107
	v_sub_f16_e32 v103, v103, v107
	s_delay_alu instid0(VALU_DEP_4) | instskip(NEXT) | instid1(VALU_DEP_4)
	v_add_f16_e64 v9, v9, v206
	v_add_f16_e32 v39, v39, v107
	s_delay_alu instid0(VALU_DEP_4) | instskip(NEXT) | instid1(VALU_DEP_4)
	v_fmac_f16_e32 v3, -0.5, v93
	v_add_f16_e32 v93, v99, v103
	s_delay_alu instid0(VALU_DEP_4) | instskip(NEXT) | instid1(VALU_DEP_4)
	v_add_f16_e64 v188, v9, v140
	v_add_f16_e32 v105, v0, v39
	v_sub_f16_e32 v0, v0, v39
	v_sub_f16_e64 v9, v9, v140
	s_delay_alu instid0(VALU_DEP_3) | instskip(SKIP_1) | instid1(VALU_DEP_3)
	v_pack_b32_f16 v105, v105, v188
	v_sub_f16_e64 v188, v113, v206
	v_pack_b32_f16 v0, v0, v9
	s_delay_alu instid0(VALU_DEP_2) | instskip(SKIP_1) | instid1(VALU_DEP_2)
	v_fma_f16 v169, 0x3b9c, v188, v139
	v_fmac_f16_e64 v139, 0xbb9c, v188
	v_fmac_f16_e64 v169, 0x38b4, v170
	s_delay_alu instid0(VALU_DEP_2) | instskip(NEXT) | instid1(VALU_DEP_2)
	v_fmac_f16_e64 v139, 0xb8b4, v170
	v_fmac_f16_e64 v169, 0x34f2, v154
	s_delay_alu instid0(VALU_DEP_2) | instskip(NEXT) | instid1(VALU_DEP_2)
	v_fmac_f16_e64 v139, 0x34f2, v154
	v_add_f16_e64 v173, v169, v168
	s_delay_alu instid0(VALU_DEP_1)
	v_pack_b32_f16 v173, v173, v174
	ds_store_2addr_b32 v191, v105, v173 offset1:30
	v_sub_f16_e64 v105, v158, v114
	v_fma_f16 v158, 0xbb9c, v170, v152
	v_fmac_f16_e64 v152, 0x3b9c, v170
	v_sub_f16_e64 v114, v189, v206
	s_delay_alu instid0(VALU_DEP_4) | instskip(SKIP_4) | instid1(VALU_DEP_3)
	v_add_f16_e32 v94, v105, v94
	v_sub_f16_e64 v105, v181, v113
	v_add_f16_e64 v113, v113, v206
	v_fmac_f16_e64 v158, 0x38b4, v188
	v_fmac_f16_e64 v152, 0xb8b4, v188
	v_fmac_f16_e64 v129, -0.5, v113
	s_delay_alu instid0(VALU_DEP_3) | instskip(NEXT) | instid1(VALU_DEP_3)
	v_fmac_f16_e64 v158, 0x34f2, v94
	v_fmac_f16_e64 v152, 0x34f2, v94
	v_add_f16_e32 v94, v105, v114
	s_delay_alu instid0(VALU_DEP_4) | instskip(SKIP_1) | instid1(VALU_DEP_2)
	v_fma_f16 v105, 0x3b9c, v135, v129
	v_fmac_f16_e64 v129, 0xbb9c, v135
	v_fmac_f16_e64 v105, 0xb8b4, v171
	s_delay_alu instid0(VALU_DEP_2) | instskip(NEXT) | instid1(VALU_DEP_2)
	v_fmac_f16_e64 v129, 0x38b4, v171
	v_fmac_f16_e32 v105, 0x34f2, v94
	s_delay_alu instid0(VALU_DEP_2) | instskip(SKIP_1) | instid1(VALU_DEP_1)
	v_fmac_f16_e64 v129, 0x34f2, v94
	v_add_f16_e32 v94, v96, v110
	v_fmac_f16_e32 v1, -0.5, v94
	v_sub_f16_e32 v94, v101, v96
	v_fma_f16 v96, 0xbb9c, v167, v3
	v_fmac_f16_e64 v3, 0x3b9c, v167
	s_delay_alu instid0(VALU_DEP_3) | instskip(NEXT) | instid1(VALU_DEP_3)
	v_add_f16_e32 v12, v94, v12
	v_fmac_f16_e64 v96, 0x38b4, v133
	s_delay_alu instid0(VALU_DEP_3) | instskip(NEXT) | instid1(VALU_DEP_2)
	v_fmac_f16_e64 v3, 0xb8b4, v133
	v_fmac_f16_e32 v96, 0x34f2, v93
	s_delay_alu instid0(VALU_DEP_2) | instskip(SKIP_2) | instid1(VALU_DEP_4)
	v_fmac_f16_e32 v3, 0x34f2, v93
	v_fma_f16 v93, 0x3b9c, v166, v1
	v_fmac_f16_e64 v1, 0xbb9c, v166
	v_mul_f16_e32 v94, 0xbb9c, v96
	s_delay_alu instid0(VALU_DEP_3) | instskip(NEXT) | instid1(VALU_DEP_3)
	v_fmac_f16_e64 v93, 0xb8b4, v132
	v_fmac_f16_e64 v1, 0x38b4, v132
	s_delay_alu instid0(VALU_DEP_2) | instskip(NEXT) | instid1(VALU_DEP_2)
	v_fmac_f16_e32 v93, 0x34f2, v12
	v_fmac_f16_e32 v1, 0x34f2, v12
	s_delay_alu instid0(VALU_DEP_2) | instskip(SKIP_2) | instid1(VALU_DEP_3)
	v_mul_f16_e32 v12, 0x3b9c, v93
	v_fmac_f16_e32 v94, 0x34f2, v93
	v_mul_f16_e32 v93, 0xb4f2, v3
	v_fmac_f16_e32 v12, 0x34f2, v96
	s_delay_alu instid0(VALU_DEP_3) | instskip(NEXT) | instid1(VALU_DEP_3)
	v_add_f16_e32 v96, v105, v94
	v_fmac_f16_e32 v93, 0x3b9c, v1
	v_mul_f16_e32 v1, 0xb4f2, v1
	s_delay_alu instid0(VALU_DEP_4) | instskip(NEXT) | instid1(VALU_DEP_2)
	v_sub_f16_e64 v9, v158, v12
	v_fmac_f16_e32 v1, 0xbb9c, v3
	v_add_f16_e64 v3, v158, v12
	v_sub_f16_e64 v12, v172, v134
	s_delay_alu instid0(VALU_DEP_3) | instskip(NEXT) | instid1(VALU_DEP_3)
	v_add_f16_e64 v99, v129, v1
	v_pack_b32_f16 v3, v3, v96
	v_add_f16_e64 v96, v152, v93
	v_sub_f16_e64 v1, v129, v1
	s_delay_alu instid0(VALU_DEP_2) | instskip(SKIP_3) | instid1(VALU_DEP_2)
	v_pack_b32_f16 v96, v96, v99
	ds_store_2addr_b32 v191, v3, v96 offset0:60 offset1:90
	v_mul_f16_e64 v3, 0xba79, v130
	v_mul_f16_e64 v96, 0xba79, v131
	v_fmac_f16_e64 v3, 0x38b4, v131
	s_delay_alu instid0(VALU_DEP_2) | instskip(NEXT) | instid1(VALU_DEP_2)
	v_fmac_f16_e64 v96, 0xb8b4, v130
	v_add_f16_e64 v39, v139, v3
	s_delay_alu instid0(VALU_DEP_2) | instskip(SKIP_1) | instid1(VALU_DEP_2)
	v_add_f16_e64 v99, v162, v96
	v_sub_f16_e64 v3, v139, v3
	v_pack_b32_f16 v39, v39, v99
	v_fma_f16 v99, 0x3b9c, v253, v187
	v_fmac_f16_e64 v187, 0xbb9c, v253
	ds_store_2addr_b32 v191, v39, v0 offset0:120 offset1:150
	v_sub_f16_e64 v0, v169, v168
	v_sub_f16_e32 v39, v105, v94
	v_sub_f16_e32 v94, v100, v95
	v_fmac_f16_e64 v99, 0x38b4, v246
	v_fmac_f16_e64 v187, 0xb8b4, v246
	v_pack_b32_f16 v0, v0, v12
	v_pack_b32_f16 v9, v9, v39
	v_sub_f16_e64 v12, v118, v184
	v_sub_f16_e64 v39, v220, v201
	ds_store_2addr_b32 v191, v0, v9 offset0:180 offset1:210
	v_sub_f16_e64 v0, v152, v93
	v_add_f16_e32 v12, v12, v39
	v_add_f16_e64 v39, v233, v14
	v_sub_f16_e32 v14, v121, v14
	v_sub_f16_e64 v93, v221, v217
	v_sub_f16_e64 v9, v162, v96
	v_pack_b32_f16 v0, v0, v1
	v_add_f16_e64 v39, v39, v217
	s_delay_alu instid0(VALU_DEP_4)
	v_add_f16_e32 v14, v14, v93
	v_add_f16_e64 v93, v240, v15
	v_sub_f16_e32 v15, v98, v15
	v_pack_b32_f16 v1, v3, v9
	v_add_nc_u32_e32 v3, 0x200, v191
	v_sub_f16_e64 v9, v183, v192
	v_add_f16_e32 v93, v93, v95
	v_add_f16_e32 v15, v15, v94
	v_fma_f16 v94, 0xbb9c, v138, v237
	v_fma_f16 v95, 0x3b9c, v251, v230
	ds_store_2addr_b32 v3, v0, v1 offset0:112 offset1:142
	v_sub_f16_e64 v0, v115, v183
	v_sub_f16_e64 v1, v219, v192
	v_fmac_f16_e64 v94, 0xb8b4, v254
	v_fmac_f16_e64 v95, 0x38b4, v248
	v_add_f16_e64 v39, v39, v221
	v_add_f16_e32 v93, v93, v100
	v_add_f16_e32 v0, v0, v1
	v_fmac_f16_e32 v94, 0x34f2, v15
	v_fmac_f16_e32 v95, 0x34f2, v14
	v_add_f16_e64 v1, v227, v183
	scratch_store_b32 off, v3, off offset:296 ; 4-byte Folded Spill
	v_sub_f16_e64 v3, v115, v219
	v_mul_f16_e32 v96, 0x38b4, v94
	v_fmac_f16_e32 v99, 0x34f2, v0
	v_add_f16_e64 v1, v1, v192
	v_fmac_f16_e64 v230, 0xbb9c, v251
	v_fmac_f16_e64 v237, 0x3b9c, v138
	v_fmac_f16_e32 v96, 0x3a79, v95
	v_mul_f16_e32 v95, 0xb8b4, v95
	v_add_f16_e64 v1, v1, v219
	v_fmac_f16_e64 v230, 0xb8b4, v248
	v_fmac_f16_e64 v237, 0x38b4, v254
	v_add_f16_e32 v101, v99, v96
	v_fmac_f16_e32 v95, 0x3a79, v94
	v_and_b32_e32 v94, 0xffff, v104
	v_fmac_f16_e64 v230, 0x34f2, v14
	v_fmac_f16_e64 v237, 0x34f2, v15
	;; [unrolled: 1-line block ×3, first 2 shown]
	v_fmamk_f16 v14, v82, 0x3b9c, v45
	v_mul_u32_u24_e32 v94, 0x12c, v94
	v_mul_f16_e64 v0, 0xba79, v230
	v_fmac_f16_e32 v45, 0xbb9c, v82
	s_delay_alu instid0(VALU_DEP_4) | instskip(NEXT) | instid1(VALU_DEP_4)
	v_fmac_f16_e32 v14, 0x38b4, v79
	v_add_lshl_u32 v192, v94, v2, 2
	v_add_f16_e64 v2, v226, v118
	v_add_f16_e32 v94, v1, v39
	v_fmac_f16_e64 v0, 0x38b4, v237
	v_sub_f16_e32 v1, v1, v39
	v_fmamk_f16 v39, v80, 0x3b9c, v40
	v_add_f16_e64 v2, v2, v184
	v_fmac_f16_e32 v40, 0xbb9c, v80
	v_fmac_f16_e32 v45, 0xb8b4, v79
	s_delay_alu instid0(VALU_DEP_4) | instskip(NEXT) | instid1(VALU_DEP_4)
	v_fmac_f16_e32 v39, 0x38b4, v78
	v_add_f16_e64 v2, v2, v201
	s_delay_alu instid0(VALU_DEP_4) | instskip(NEXT) | instid1(VALU_DEP_2)
	v_fmac_f16_e32 v40, 0xb8b4, v78
	v_add_f16_e64 v2, v2, v220
	s_delay_alu instid0(VALU_DEP_1) | instskip(SKIP_1) | instid1(VALU_DEP_2)
	v_add_f16_e32 v98, v2, v93
	v_sub_f16_e32 v2, v2, v93
	v_pack_b32_f16 v94, v94, v98
	v_add_f16_e64 v98, v184, v201
	s_delay_alu instid0(VALU_DEP_3) | instskip(NEXT) | instid1(VALU_DEP_2)
	v_pack_b32_f16 v1, v1, v2
	v_fma_f16 v98, -0.5, v98, v226
	s_delay_alu instid0(VALU_DEP_1) | instskip(SKIP_1) | instid1(VALU_DEP_2)
	v_fmamk_f16 v100, v3, 0xbb9c, v98
	v_fmac_f16_e32 v98, 0x3b9c, v3
	v_fmac_f16_e32 v100, 0xb8b4, v9
	s_delay_alu instid0(VALU_DEP_2) | instskip(NEXT) | instid1(VALU_DEP_2)
	v_fmac_f16_e32 v98, 0x38b4, v9
	v_fmac_f16_e32 v100, 0x34f2, v12
	s_delay_alu instid0(VALU_DEP_2) | instskip(NEXT) | instid1(VALU_DEP_2)
	v_fmac_f16_e32 v98, 0x34f2, v12
	v_add_f16_e32 v103, v100, v95
	s_delay_alu instid0(VALU_DEP_1)
	v_pack_b32_f16 v101, v101, v103
	v_mul_f16_e64 v103, 0xbb9c, v249
	ds_store_2addr_b32 v192, v94, v101 offset1:30
	v_add_f16_e64 v94, v118, v220
	v_sub_f16_e64 v101, v201, v220
	v_fmac_f16_e64 v103, 0x34f2, v255
	s_delay_alu instid0(VALU_DEP_3) | instskip(SKIP_1) | instid1(VALU_DEP_1)
	v_fmac_f16_e64 v226, -0.5, v94
	v_sub_f16_e64 v94, v184, v118
	v_add_f16_e32 v94, v94, v101
	s_delay_alu instid0(VALU_DEP_3) | instskip(SKIP_3) | instid1(VALU_DEP_4)
	v_fma_f16 v101, 0x3b9c, v9, v226
	v_fmac_f16_e64 v226, 0xbb9c, v9
	v_add_f16_e64 v9, v187, v0
	v_sub_f16_e64 v0, v187, v0
	v_fmac_f16_e32 v101, 0xb8b4, v3
	s_delay_alu instid0(VALU_DEP_4) | instskip(SKIP_1) | instid1(VALU_DEP_3)
	v_fmac_f16_e64 v226, 0x38b4, v3
	v_mul_f16_e64 v3, 0xba79, v237
	v_fmac_f16_e32 v101, 0x34f2, v94
	s_delay_alu instid0(VALU_DEP_3) | instskip(NEXT) | instid1(VALU_DEP_3)
	v_fmac_f16_e64 v226, 0x34f2, v94
	v_fmac_f16_e64 v3, 0xb8b4, v230
	v_mul_f16_e64 v94, 0x3b9c, v255
	s_delay_alu instid0(VALU_DEP_4) | instskip(NEXT) | instid1(VALU_DEP_3)
	v_add_f16_e32 v105, v101, v103
	v_add_f16_e32 v12, v98, v3
	s_delay_alu instid0(VALU_DEP_3) | instskip(NEXT) | instid1(VALU_DEP_2)
	v_fmac_f16_e64 v94, 0x34f2, v249
	v_pack_b32_f16 v9, v9, v12
	s_delay_alu instid0(VALU_DEP_2)
	v_sub_f16_e64 v2, v247, v94
	v_sub_f16_e32 v12, v101, v103
	v_add_f16_e64 v104, v247, v94
	ds_store_2addr_b32 v192, v9, v1 offset0:120 offset1:150
	v_sub_f16_e32 v1, v99, v96
	v_sub_f16_e32 v9, v100, v95
	v_pack_b32_f16 v2, v2, v12
	v_sub_f16_e32 v12, v48, v47
	v_pack_b32_f16 v104, v104, v105
	v_add_f16_e64 v105, v226, v92
	v_pack_b32_f16 v1, v1, v9
	v_sub_f16_e32 v9, v37, v36
	s_delay_alu instid0(VALU_DEP_3)
	v_pack_b32_f16 v105, v128, v105
	ds_store_2addr_b32 v192, v1, v2 offset0:180 offset1:210
	v_sub_f16_e64 v1, v226, v92
	v_sub_f16_e32 v2, v98, v3
	v_sub_f16_e32 v3, v38, v11
	ds_store_2addr_b32 v192, v104, v105 offset0:60 offset1:90
	v_pack_b32_f16 v1, v10, v1
	v_pack_b32_f16 v0, v0, v2
	v_add_nc_u32_e32 v2, 0x200, v192
	v_sub_f16_e32 v10, v74, v70
	scratch_store_b32 off, v2, off offset:292 ; 4-byte Folded Spill
	ds_store_2addr_b32 v2, v1, v0 offset0:112 offset1:142
	v_sub_f16_e32 v0, v13, v38
	v_sub_f16_e32 v1, v8, v11
	;; [unrolled: 1-line block ×4, first 2 shown]
	s_delay_alu instid0(VALU_DEP_3) | instskip(SKIP_1) | instid1(VALU_DEP_3)
	v_add_f16_e32 v0, v0, v1
	v_add_f16_e32 v1, v46, v38
	;; [unrolled: 1-line block ×3, first 2 shown]
	v_fmamk_f16 v13, v83, 0xbb9c, v75
	v_fmac_f16_e32 v75, 0x3b9c, v83
	v_fmac_f16_e32 v39, 0x34f2, v0
	v_add_f16_e32 v1, v1, v11
	v_sub_f16_e32 v11, v73, v72
	v_fmac_f16_e32 v13, 0xb8b4, v81
	v_fmac_f16_e32 v75, 0x38b4, v81
	;; [unrolled: 1-line block ×3, first 2 shown]
	v_add_f16_e32 v1, v1, v8
	v_add_f16_e32 v10, v10, v11
	v_fmac_f16_e32 v13, 0x34f2, v12
	v_sub_f16_e32 v8, v31, v30
	v_add_f16_e32 v11, v89, v47
	v_fmac_f16_e32 v75, 0x34f2, v12
	v_fmac_f16_e32 v14, 0x34f2, v10
	v_mul_f16_e32 v15, 0x38b4, v13
	v_add_f16_e32 v8, v8, v9
	v_add_f16_e32 v9, v88, v70
	;; [unrolled: 1-line block ×3, first 2 shown]
	v_fmac_f16_e32 v45, 0x34f2, v10
	v_fmac_f16_e32 v15, 0x3a79, v14
	v_mul_f16_e32 v14, 0xb8b4, v14
	v_add_f16_e32 v9, v9, v72
	v_add_f16_e32 v11, v11, v71
	v_mul_f16_e32 v0, 0xba79, v45
	v_add_f16_e32 v47, v39, v15
	v_fmac_f16_e32 v14, 0x3a79, v13
	v_mad_u16 v13, 0x12c, v28, v29
	v_add_f16_e32 v28, v41, v31
	v_add_f16_e32 v9, v9, v73
	v_fmac_f16_e32 v0, 0x38b4, v75
	s_delay_alu instid0(VALU_DEP_4) | instskip(NEXT) | instid1(VALU_DEP_4)
	v_and_b32_e32 v13, 0xffff, v13
	v_add_f16_e32 v28, v28, v30
	s_delay_alu instid0(VALU_DEP_4) | instskip(SKIP_1) | instid1(VALU_DEP_4)
	v_add_f16_e32 v29, v1, v9
	v_sub_f16_e32 v1, v1, v9
	v_lshlrev_b32_e32 v149, 2, v13
	s_delay_alu instid0(VALU_DEP_4) | instskip(SKIP_1) | instid1(VALU_DEP_2)
	v_add_f16_e32 v28, v28, v36
	v_add_f16_e32 v13, v31, v37
	;; [unrolled: 1-line block ×3, first 2 shown]
	s_delay_alu instid0(VALU_DEP_1) | instskip(NEXT) | instid1(VALU_DEP_1)
	v_add_f16_e32 v38, v28, v11
	v_pack_b32_f16 v29, v29, v38
	v_add_f16_e32 v38, v30, v36
	s_delay_alu instid0(VALU_DEP_1)
	v_fma_f16 v38, -0.5, v38, v41
	v_fmac_f16_e32 v41, -0.5, v13
	v_sub_f16_e32 v13, v30, v31
	v_mul_f16_e32 v30, 0xbb9c, v86
	v_mul_f16_e32 v31, 0xb4f2, v42
	v_fmamk_f16 v46, v2, 0xbb9c, v38
	v_fmac_f16_e32 v38, 0x3b9c, v2
	s_delay_alu instid0(VALU_DEP_4) | instskip(NEXT) | instid1(VALU_DEP_4)
	v_fmac_f16_e32 v30, 0x34f2, v87
	v_fmac_f16_e32 v31, 0xbb9c, v44
	s_delay_alu instid0(VALU_DEP_4) | instskip(NEXT) | instid1(VALU_DEP_4)
	v_fmac_f16_e32 v46, 0xb8b4, v3
	v_fmac_f16_e32 v38, 0x38b4, v3
	s_delay_alu instid0(VALU_DEP_2) | instskip(NEXT) | instid1(VALU_DEP_2)
	v_fmac_f16_e32 v46, 0x34f2, v8
	v_fmac_f16_e32 v38, 0x34f2, v8
	v_add_f16_e32 v8, v40, v0
	v_sub_f16_e32 v0, v40, v0
	s_delay_alu instid0(VALU_DEP_4) | instskip(NEXT) | instid1(VALU_DEP_1)
	v_add_f16_e32 v48, v46, v14
	v_pack_b32_f16 v47, v47, v48
	ds_store_2addr_b32 v149, v29, v47 offset1:30
	v_sub_f16_e32 v29, v36, v37
	s_delay_alu instid0(VALU_DEP_1) | instskip(SKIP_3) | instid1(VALU_DEP_3)
	v_add_f16_e32 v13, v13, v29
	v_fmamk_f16 v29, v3, 0x3b9c, v41
	v_fmac_f16_e32 v41, 0xbb9c, v3
	v_sub_f16_e32 v3, v28, v11
	v_fmac_f16_e32 v29, 0xb8b4, v2
	s_delay_alu instid0(VALU_DEP_3) | instskip(SKIP_1) | instid1(VALU_DEP_4)
	v_fmac_f16_e32 v41, 0x38b4, v2
	v_mul_f16_e32 v2, 0xba79, v75
	v_pack_b32_f16 v1, v1, v3
	s_delay_alu instid0(VALU_DEP_4) | instskip(NEXT) | instid1(VALU_DEP_4)
	v_fmac_f16_e32 v29, 0x34f2, v13
	v_fmac_f16_e32 v41, 0x34f2, v13
	s_delay_alu instid0(VALU_DEP_4) | instskip(SKIP_1) | instid1(VALU_DEP_4)
	v_fmac_f16_e32 v2, 0xb8b4, v45
	v_mul_f16_e32 v13, 0x3b9c, v87
	v_add_f16_e32 v37, v29, v30
	s_delay_alu instid0(VALU_DEP_3) | instskip(NEXT) | instid1(VALU_DEP_3)
	v_add_f16_e32 v9, v38, v2
	v_fmac_f16_e32 v13, 0x34f2, v86
	v_sub_f16_e32 v2, v38, v2
	s_delay_alu instid0(VALU_DEP_3) | instskip(NEXT) | instid1(VALU_DEP_3)
	v_pack_b32_f16 v8, v8, v9
	v_add_f16_e32 v36, v77, v13
	v_sub_f16_e32 v3, v77, v13
	v_sub_f16_e32 v9, v29, v30
	v_pack_b32_f16 v0, v0, v2
	ds_store_2addr_b32 v149, v8, v1 offset0:120 offset1:150
	v_sub_f16_e32 v1, v39, v15
	v_sub_f16_e32 v8, v46, v14
	v_pack_b32_f16 v36, v36, v37
	v_add_f16_e32 v37, v41, v31
	v_pack_b32_f16 v3, v3, v9
	v_add_nc_u32_e32 v2, 0x200, v149
	v_pack_b32_f16 v1, v1, v8
	s_delay_alu instid0(VALU_DEP_4)
	v_pack_b32_f16 v37, v91, v37
	scratch_store_b32 off, v2, off offset:284 ; 4-byte Folded Spill
	ds_store_2addr_b32 v149, v1, v3 offset0:180 offset1:210
	v_sub_f16_e32 v1, v41, v31
	ds_store_2addr_b32 v149, v36, v37 offset0:60 offset1:90
	v_mad_co_u64_u32 v[36:37], null, v151, 36, s[6:7]
	v_pack_b32_f16 v1, v90, v1
	ds_store_2addr_b32 v2, v1, v0 offset0:112 offset1:142
	global_wb scope:SCOPE_SE
	s_wait_storecnt_dscnt 0x0
	s_barrier_signal -1
	s_barrier_wait -1
	global_inv scope:SCOPE_SE
	s_clause 0x2
	global_load_b128 v[180:183], v[36:37], off offset:8360
	global_load_b128 v[218:221], v[36:37], off offset:8376
	global_load_b32 v187, v[36:37], off offset:8392
	ds_load_2addr_b32 v[38:39], v148 offset0:120 offset1:220
	ds_load_2addr_b32 v[43:44], v108 offset0:80 offset1:180
	;; [unrolled: 1-line block ×9, first 2 shown]
	s_wait_dscnt 0x8
	v_lshrrev_b32_e32 v0, 16, v38
	s_wait_dscnt 0x6
	v_lshrrev_b32_e32 v1, 16, v45
	;; [unrolled: 2-line block ×5, first 2 shown]
	s_wait_loadcnt 0x2
	v_lshrrev_b32_e32 v189, 16, v183
	s_wait_loadcnt 0x1
	v_lshrrev_b32_e32 v2, 16, v219
	v_lshrrev_b32_e32 v190, 16, v181
	;; [unrolled: 1-line block ×4, first 2 shown]
	v_mul_f16_e64 v71, v38, v189
	v_mul_f16_e32 v73, v43, v2
	v_mul_f16_e64 v76, v45, v190
	v_mul_f16_e32 v74, v69, v3
	v_mul_f16_e32 v86, v99, v109
	v_fmac_f16_e64 v71, v0, v183
	v_mul_f16_e64 v0, v0, v189
	v_fmac_f16_e64 v76, v1, v181
	v_mul_f16_e64 v1, v1, v190
	v_lshrrev_b32_e32 v120, 16, v218
	v_lshrrev_b32_e32 v112, 16, v182
	v_fma_f16 v72, v38, v183, -v0
	v_lshrrev_b32_e32 v0, 16, v43
	v_fma_f16 v77, v45, v181, -v1
	v_mul_f16_e64 v81, v247, v120
	v_lshrrev_b32_e32 v119, 16, v220
	v_mul_f16_e32 v94, v104, v112
	v_fmac_f16_e64 v73, v0, v219
	v_mul_f16_e32 v0, v0, v2
	v_lshrrev_b32_e32 v2, 16, v69
	v_add_f16_e32 v80, v47, v77
	v_mul_f16_e64 v82, v249, v119
	s_wait_loadcnt 0x0
	v_lshrrev_b32_e32 v217, 16, v187
	v_fma_f16 v75, v43, v219, -v0
	v_fmac_f16_e64 v74, v2, v221
	v_mul_f16_e32 v2, v2, v3
	v_sub_f16_e32 v95, v71, v73
	s_delay_alu instid0(VALU_DEP_4) | instskip(NEXT) | instid1(VALU_DEP_4)
	v_add_f16_e32 v0, v72, v75
	v_sub_f16_e32 v100, v76, v74
	s_delay_alu instid0(VALU_DEP_4) | instskip(NEXT) | instid1(VALU_DEP_3)
	v_fma_f16 v69, v69, v221, -v2
	v_fma_f16 v78, -0.5, v0, v47
	s_delay_alu instid0(VALU_DEP_2) | instskip(SKIP_1) | instid1(VALU_DEP_2)
	v_add_f16_e32 v0, v77, v69
	v_sub_f16_e32 v1, v75, v69
	v_fmac_f16_e32 v47, -0.5, v0
	v_sub_f16_e32 v0, v72, v77
	s_delay_alu instid0(VALU_DEP_2) | instskip(NEXT) | instid1(VALU_DEP_2)
	v_fmamk_f16 v91, v95, 0xbb9c, v47
	v_add_f16_e32 v88, v0, v1
	v_lshrrev_b32_e32 v0, 16, v99
	v_lshrrev_b32_e32 v1, 16, v104
	v_fmac_f16_e32 v47, 0x3b9c, v95
	v_fmac_f16_e32 v91, 0x38b4, v100
	s_delay_alu instid0(VALU_DEP_4)
	v_fmac_f16_e64 v86, v0, v180
	v_mul_f16_e32 v2, v0, v109
	v_lshrrev_b32_e32 v0, 16, v247
	v_fmac_f16_e64 v94, v1, v182
	v_mul_f16_e32 v3, v1, v112
	v_fmac_f16_e32 v47, 0xb8b4, v100
	v_fma_f16 v87, v99, v180, -v2
	v_fmac_f16_e64 v81, v0, v218
	v_mul_f16_e32 v0, v0, v120
	v_fma_f16 v96, v104, v182, -v3
	v_add_f16_e32 v93, v86, v94
	v_fmac_f16_e32 v47, 0x34f2, v88
	v_fmac_f16_e32 v91, 0x34f2, v88
	v_fma_f16 v113, v247, v218, -v0
	v_lshrrev_b32_e32 v0, 16, v249
	v_add_f16_e32 v90, v87, v96
	s_delay_alu instid0(VALU_DEP_2) | instskip(SKIP_4) | instid1(VALU_DEP_1)
	v_fmac_f16_e64 v82, v0, v220
	v_mul_f16_e32 v28, v0, v119
	ds_load_2addr_b32 v[0:1], v102 offset0:112 offset1:212
	v_sub_f16_e32 v101, v81, v82
	v_fma_f16 v83, v249, v220, -v28
	v_sub_f16_e32 v99, v113, v83
	s_wait_dscnt 0x0
	v_lshrrev_b32_e32 v29, 16, v1
	v_mul_f16_e64 v121, v1, v217
	v_lshrrev_b32_e32 v155, 16, v0
	s_delay_alu instid0(VALU_DEP_2) | instskip(SKIP_1) | instid1(VALU_DEP_2)
	v_fmac_f16_e64 v121, v29, v187
	v_mul_f16_e64 v29, v29, v217
	v_sub_f16_e32 v107, v94, v121
	s_delay_alu instid0(VALU_DEP_2)
	v_fma_f16 v158, v1, v187, -v29
	s_clause 0x1
	global_load_b128 v[40:43], v[36:37], off offset:1160
	global_load_b128 v[28:31], v[36:37], off offset:1176
	v_add_f16_e32 v1, v113, v83
	global_load_b32 v226, v[36:37], off offset:1192
	v_sub_f16_e64 v2, v83, v158
	v_sub_f16_e64 v110, v96, v158
	v_fma_f16 v89, -0.5, v1, v87
	v_add_f16_e64 v1, v96, v158
	s_delay_alu instid0(VALU_DEP_1) | instskip(SKIP_2) | instid1(VALU_DEP_3)
	v_fmac_f16_e32 v87, -0.5, v1
	v_sub_f16_e32 v1, v113, v96
	v_sub_f16_e32 v96, v96, v113
	v_fmamk_f16 v115, v101, 0xbb9c, v87
	s_delay_alu instid0(VALU_DEP_3) | instskip(SKIP_4) | instid1(VALU_DEP_4)
	v_add_f16_e32 v104, v1, v2
	v_add_f16_e32 v1, v81, v82
	v_fmac_f16_e32 v87, 0x3b9c, v101
	v_sub_f16_e32 v2, v82, v121
	v_fmac_f16_e32 v115, 0x38b4, v107
	v_fma_f16 v92, -0.5, v1, v86
	v_add_f16_e32 v1, v94, v121
	v_fmac_f16_e32 v87, 0xb8b4, v107
	s_delay_alu instid0(VALU_DEP_4) | instskip(NEXT) | instid1(VALU_DEP_3)
	v_fmac_f16_e32 v115, 0x34f2, v104
	v_fmac_f16_e32 v86, -0.5, v1
	v_sub_f16_e32 v1, v81, v94
	s_delay_alu instid0(VALU_DEP_4)
	v_fmac_f16_e32 v87, 0x34f2, v104
	v_sub_f16_e32 v94, v94, v81
	v_mul_f16_e32 v88, 0xbb9c, v115
	v_fmamk_f16 v118, v99, 0x3b9c, v86
	v_fmac_f16_e32 v86, 0xbb9c, v99
	v_add_f16_e32 v114, v1, v2
	v_mul_f16_e32 v1, 0xb4f2, v87
	v_lshrrev_b32_e32 v2, 16, v48
	v_fmac_f16_e32 v118, 0xb8b4, v110
	v_fmac_f16_e32 v86, 0x38b4, v110
	s_delay_alu instid0(VALU_DEP_2) | instskip(NEXT) | instid1(VALU_DEP_2)
	v_fmac_f16_e32 v118, 0x34f2, v114
	v_fmac_f16_e32 v86, 0x34f2, v114
	s_delay_alu instid0(VALU_DEP_2) | instskip(NEXT) | instid1(VALU_DEP_2)
	v_fmac_f16_e32 v88, 0x34f2, v118
	v_fmac_f16_e32 v1, 0x3b9c, v86
	s_delay_alu instid0(VALU_DEP_1)
	v_add_f16_e32 v105, v47, v1
	v_sub_f16_e32 v111, v47, v1
	v_lshrrev_b32_e32 v1, 16, v46
	s_wait_loadcnt 0x2
	v_lshrrev_b32_e32 v255, 16, v42
	s_wait_loadcnt 0x1
	v_lshrrev_b32_e32 v236, 16, v28
	v_lshrrev_b32_e32 v233, 16, v30
	v_lshrrev_b32_e32 v106, 16, v40
	v_lshrrev_b32_e32 v247, 16, v29
	v_mul_f16_e64 v38, v1, v255
	v_mul_f16_e64 v132, v39, v236
	;; [unrolled: 1-line block ×5, first 2 shown]
	v_fma_f16 v129, v46, v42, -v38
	v_lshrrev_b32_e32 v38, 16, v39
	v_fmac_f16_e64 v130, v1, v42
	v_mul_f16_e32 v3, v2, v106
	v_fmac_f16_e64 v128, v2, v40
	v_lshrrev_b32_e32 v249, 16, v31
	v_mul_f16_e64 v45, v38, v236
	v_fmac_f16_e64 v132, v38, v28
	v_lshrrev_b32_e32 v38, 16, v70
	v_fma_f16 v3, v48, v40, -v3
	s_delay_alu instid0(VALU_DEP_4) | instskip(SKIP_1) | instid1(VALU_DEP_1)
	v_fma_f16 v131, v39, v28, -v45
	v_lshrrev_b32_e32 v39, 16, v44
	v_mul_f16_e64 v45, v39, v233
	v_fmac_f16_e64 v134, v39, v30
	v_lshrrev_b32_e32 v39, 16, v98
	s_delay_alu instid0(VALU_DEP_3) | instskip(SKIP_3) | instid1(VALU_DEP_1)
	v_fma_f16 v133, v44, v30, -v45
	global_load_b128 v[44:47], v[36:37], off offset:4760
	s_wait_loadcnt 0x1
	v_lshrrev_b32_e32 v227, 16, v226
	v_mul_f16_e64 v1, v38, v227
	s_delay_alu instid0(VALU_DEP_1) | instskip(SKIP_1) | instid1(VALU_DEP_2)
	v_fma_f16 v135, v70, v226, -v1
	v_mul_f16_e64 v70, v70, v227
	v_sub_f16_e64 v184, v133, v135
	s_delay_alu instid0(VALU_DEP_2) | instskip(SKIP_4) | instid1(VALU_DEP_3)
	v_fmac_f16_e64 v70, v38, v226
	s_wait_loadcnt 0x0
	v_lshrrev_b32_e32 v251, 16, v44
	v_lshrrev_b32_e32 v254, 16, v45
	;; [unrolled: 1-line block ×3, first 2 shown]
	v_mul_f16_e64 v1, v39, v251
	v_mul_f16_e64 v139, v98, v251
	s_delay_alu instid0(VALU_DEP_3) | instskip(NEXT) | instid1(VALU_DEP_3)
	v_mul_f16_e64 v166, v103, v253
	v_fma_f16 v138, v98, v44, -v1
	ds_load_2addr_b32 v[1:2], v4 offset0:88 offset1:188
	v_lshrrev_b32_e32 v98, 16, v41
	v_fmac_f16_e64 v139, v39, v44
	v_fmac_f16_e64 v166, v154, v46
	s_delay_alu instid0(VALU_DEP_1)
	v_add_f16_e64 v11, v139, v166
	s_wait_dscnt 0x0
	v_lshrrev_b32_e32 v48, 16, v1
	v_mul_f16_e64 v140, v1, v98
	v_lshrrev_b32_e32 v145, 16, v2
	v_mul_f16_e64 v152, v2, v254
	s_delay_alu instid0(VALU_DEP_3) | instskip(SKIP_1) | instid1(VALU_DEP_3)
	v_fmac_f16_e64 v140, v48, v41
	v_mul_f16_e32 v48, v48, v98
	v_fmac_f16_e64 v152, v145, v45
	s_delay_alu instid0(VALU_DEP_2) | instskip(SKIP_2) | instid1(VALU_DEP_2)
	v_fma_f16 v142, v1, v41, -v48
	v_mul_f16_e64 v1, v145, v254
	v_lshrrev_b32_e32 v145, 16, v246
	v_fma_f16 v150, v2, v45, -v1
	v_mul_f16_e64 v1, v154, v253
	s_delay_alu instid0(VALU_DEP_1)
	v_fma_f16 v162, v103, v46, -v1
	ds_load_2addr_b32 v[1:2], v84 offset0:48 offset1:148
	s_clause 0x1
	global_load_b32 v230, v[36:37], off offset:4792
	global_load_b128 v[36:39], v[36:37], off offset:4776
	v_lshrrev_b32_e32 v103, 16, v43
	v_add_f16_e64 v16, v138, v162
	s_wait_dscnt 0x0
	v_lshrrev_b32_e32 v48, 16, v1
	s_delay_alu instid0(VALU_DEP_3) | instskip(NEXT) | instid1(VALU_DEP_1)
	v_mul_f16_e64 v167, v1, v103
	v_fmac_f16_e64 v167, v48, v43
	v_mul_f16_e32 v48, v48, v103
	s_delay_alu instid0(VALU_DEP_1) | instskip(SKIP_2) | instid1(VALU_DEP_2)
	v_fma_f16 v168, v1, v43, -v48
	v_lshrrev_b32_e32 v48, 16, v47
	v_lshrrev_b32_e32 v1, 16, v2
	v_mul_f16_e64 v170, v2, v48
	s_delay_alu instid0(VALU_DEP_2) | instskip(NEXT) | instid1(VALU_DEP_2)
	v_mul_f16_e64 v169, v1, v48
	v_fmac_f16_e64 v170, v1, v47
	s_delay_alu instid0(VALU_DEP_2) | instskip(SKIP_3) | instid1(VALU_DEP_2)
	v_fma_f16 v169, v2, v47, -v169
	s_wait_loadcnt 0x0
	v_lshrrev_b32_e32 v240, 16, v36
	v_lshrrev_b32_e32 v242, 16, v38
	v_mul_f16_e64 v1, v145, v240
	v_mul_f16_e64 v171, v246, v240
	s_delay_alu instid0(VALU_DEP_3) | instskip(NEXT) | instid1(VALU_DEP_3)
	v_mul_f16_e64 v193, v248, v242
	v_fma_f16 v154, v246, v36, -v1
	ds_load_2addr_b32 v[1:2], v144 offset0:8 offset1:108
	v_lshrrev_b32_e32 v246, 16, v37
	v_fmac_f16_e64 v171, v145, v36
	v_fmac_f16_e64 v193, v175, v38
	v_sub_f16_e64 v7, v154, v162
	v_add_f16_e64 v16, v16, v154
	s_delay_alu instid0(VALU_DEP_4) | instskip(NEXT) | instid1(VALU_DEP_4)
	v_add_f16_e64 v11, v11, v171
	v_sub_f16_e64 v10, v171, v193
	s_delay_alu instid0(VALU_DEP_2)
	v_add_f16_e64 v11, v11, v193
	s_wait_dscnt 0x0
	v_lshrrev_b32_e32 v172, 16, v1
	v_mul_f16_e64 v173, v1, v247
	v_lshrrev_b32_e32 v174, 16, v2
	v_mul_f16_e64 v136, v2, v246
	s_delay_alu instid0(VALU_DEP_3) | instskip(SKIP_1) | instid1(VALU_DEP_3)
	v_fmac_f16_e64 v173, v172, v29
	v_mul_f16_e64 v172, v172, v247
	v_fmac_f16_e64 v136, v174, v37
	s_delay_alu instid0(VALU_DEP_3) | instskip(NEXT) | instid1(VALU_DEP_3)
	v_sub_f16_e64 v197, v167, v173
	v_fma_f16 v172, v1, v29, -v172
	v_mul_f16_e64 v1, v174, v246
	s_delay_alu instid0(VALU_DEP_1) | instskip(SKIP_1) | instid1(VALU_DEP_1)
	v_fma_f16 v188, v2, v37, -v1
	v_mul_f16_e64 v1, v175, v242
	v_fma_f16 v185, v248, v38, -v1
	ds_load_2addr_b32 v[1:2], v117 offset0:96 offset1:196
	v_lshrrev_b32_e32 v248, 16, v39
	v_sub_f16_e64 v13, v154, v185
	v_add_f16_e64 v16, v16, v185
	s_wait_dscnt 0x0
	v_lshrrev_b32_e32 v237, 16, v1
	v_mul_f16_e64 v194, v1, v249
	v_mul_f16_e64 v5, v2, v248
	s_delay_alu instid0(VALU_DEP_2) | instskip(SKIP_1) | instid1(VALU_DEP_2)
	v_fmac_f16_e64 v194, v237, v31
	v_mul_f16_e64 v237, v237, v249
	v_sub_f16_e64 v174, v140, v194
	s_delay_alu instid0(VALU_DEP_2) | instskip(SKIP_1) | instid1(VALU_DEP_2)
	v_fma_f16 v195, v1, v31, -v237
	v_lshrrev_b32_e32 v1, 16, v2
	v_add_f16_e64 v206, v142, v195
	s_delay_alu instid0(VALU_DEP_2) | instskip(SKIP_3) | instid1(VALU_DEP_4)
	v_mul_f16_e64 v237, v1, v248
	v_fmac_f16_e32 v5, v1, v39
	v_sub_f16_e64 v1, v195, v172
	v_sub_f16_e64 v176, v172, v195
	v_fma_f16 v116, v2, v39, -v237
	v_lshrrev_b32_e32 v237, 16, v230
	v_sub_f16_e64 v9, v152, v5
	s_delay_alu instid0(VALU_DEP_3) | instskip(NEXT) | instid1(VALU_DEP_3)
	v_sub_f16_e64 v178, v188, v116
	v_mul_f16_e64 v201, v155, v237
	v_mul_f16_e64 v196, v0, v237
	s_delay_alu instid0(VALU_DEP_2) | instskip(SKIP_1) | instid1(VALU_DEP_3)
	v_fma_f16 v201, v0, v230, -v201
	v_sub_f16_e64 v0, v142, v168
	v_fmac_f16_e64 v196, v155, v230
	v_add_f16_e64 v155, v168, v172
	s_delay_alu instid0(VALU_DEP_4) | instskip(NEXT) | instid1(VALU_DEP_4)
	v_add_f16_e64 v203, v162, v201
	v_add_f16_e64 v145, v0, v1
	ds_load_2addr_b32 v[0:1], v147 offset1:100
	v_add_f16_e64 v2, v166, v196
	v_sub_f16_e64 v179, v193, v196
	v_sub_f16_e64 v8, v166, v196
	;; [unrolled: 1-line block ×3, first 2 shown]
	v_add_f16_e64 v16, v16, v201
	v_add_f16_e64 v11, v11, v196
	s_wait_dscnt 0x0
	v_fma_f16 v155, -0.5, v155, v0
	v_fma_f16 v206, -0.5, v206, v0
	v_lshrrev_b32_e32 v199, 16, v1
	v_add_f16_e64 v202, v1, v150
	s_delay_alu instid0(VALU_DEP_4) | instskip(SKIP_3) | instid1(VALU_DEP_4)
	v_fma_f16 v175, 0x3b9c, v174, v155
	v_fmac_f16_e64 v155, 0xbb9c, v174
	v_fma_f16 v198, 0xbb9c, v197, v206
	v_fmac_f16_e64 v206, 0x3b9c, v197
	v_fmac_f16_e64 v175, 0x38b4, v197
	s_delay_alu instid0(VALU_DEP_4)
	v_fmac_f16_e64 v155, 0xb8b4, v197
	v_sub_f16_e64 v197, v168, v142
	v_fmac_f16_e64 v198, 0x38b4, v174
	v_fmac_f16_e64 v206, 0xb8b4, v174
	v_add_f16_e64 v174, v169, v188
	v_fmac_f16_e64 v175, 0x34f2, v145
	v_add_f16_e64 v176, v197, v176
	v_add_f16_e64 v197, v150, v116
	v_fmac_f16_e64 v155, 0x34f2, v145
	v_fma_f16 v174, -0.5, v174, v1
	v_sub_f16_e64 v145, v168, v172
	v_fmac_f16_e64 v198, 0x34f2, v176
	v_fmac_f16_e64 v1, -0.5, v197
	v_sub_f16_e64 v197, v169, v150
	v_fmac_f16_e64 v206, 0x34f2, v176
	v_add_f16_e64 v176, v140, v194
	s_delay_alu instid0(VALU_DEP_3) | instskip(SKIP_1) | instid1(VALU_DEP_1)
	v_add_f16_e64 v178, v197, v178
	v_add_f16_e64 v197, v154, v185
	v_fma_f16 v197, -0.5, v197, v138
	v_fmac_f16_e64 v138, -0.5, v203
	v_sub_f16_e64 v203, v185, v201
	s_delay_alu instid0(VALU_DEP_2) | instskip(NEXT) | instid1(VALU_DEP_2)
	v_fma_f16 v4, 0xbb9c, v10, v138
	v_add_f16_e64 v17, v7, v203
	v_add_f16_e64 v203, v171, v193
	v_fmac_f16_e64 v138, 0x3b9c, v10
	s_delay_alu instid0(VALU_DEP_4) | instskip(NEXT) | instid1(VALU_DEP_3)
	v_fmac_f16_e32 v4, 0x38b4, v8
	v_fma_f16 v203, -0.5, v203, v139
	v_fmac_f16_e64 v139, -0.5, v2
	v_sub_f16_e64 v2, v171, v166
	v_fmac_f16_e64 v138, 0xb8b4, v8
	v_fmac_f16_e32 v4, 0x34f2, v17
	s_delay_alu instid0(VALU_DEP_4) | instskip(NEXT) | instid1(VALU_DEP_4)
	v_fma_f16 v14, 0x3b9c, v13, v139
	v_add_f16_e64 v12, v2, v179
	v_sub_f16_e64 v179, v170, v136
	v_fmac_f16_e64 v139, 0xbb9c, v13
	v_fmac_f16_e64 v138, 0x34f2, v17
	v_fmac_f16_e32 v14, 0xb8b4, v15
	v_add_f16_e32 v17, v79, v76
	v_fma_f16 v6, 0xbb9c, v179, v1
	v_fmac_f16_e64 v1, 0x3b9c, v179
	v_fmac_f16_e64 v139, 0x38b4, v15
	v_mul_f16_e64 v2, 0xb4f2, v138
	v_fmac_f16_e32 v14, 0x34f2, v12
	v_fmac_f16_e32 v6, 0x38b4, v9
	;; [unrolled: 1-line block ×3, first 2 shown]
	v_fmac_f16_e64 v139, 0x34f2, v12
	s_delay_alu instid0(VALU_DEP_4) | instskip(NEXT) | instid1(VALU_DEP_4)
	v_mul_f16_e32 v12, 0x3b9c, v14
	v_fmac_f16_e64 v6, 0x34f2, v178
	s_delay_alu instid0(VALU_DEP_4) | instskip(NEXT) | instid1(VALU_DEP_4)
	v_fmac_f16_e64 v1, 0x34f2, v178
	v_fmac_f16_e64 v2, 0x3b9c, v139
	s_delay_alu instid0(VALU_DEP_4) | instskip(SKIP_1) | instid1(VALU_DEP_3)
	v_fmac_f16_e32 v12, 0x34f2, v4
	v_mul_f16_e32 v4, 0xbb9c, v4
	v_add_f16_e32 v18, v1, v2
	v_sub_f16_e32 v19, v1, v2
	v_lshrrev_b32_e32 v2, 16, v0
	v_add_f16_e64 v0, v0, v142
	v_sub_f16_e64 v142, v142, v195
	v_sub_f16_e64 v1, v132, v134
	v_fmac_f16_e32 v4, 0x34f2, v14
	v_add_f16_e32 v14, v76, v74
	v_add_f16_e64 v0, v0, v168
	v_sub_f16_e64 v168, v140, v167
	v_add_f16_e32 v114, v6, v12
	v_sub_f16_e32 v6, v6, v12
	s_delay_alu instid0(VALU_DEP_4) | instskip(SKIP_1) | instid1(VALU_DEP_2)
	v_add_f16_e64 v0, v0, v172
	v_sub_f16_e64 v172, v194, v173
	v_add_f16_e64 v7, v0, v195
	s_delay_alu instid0(VALU_DEP_2) | instskip(SKIP_3) | instid1(VALU_DEP_3)
	v_add_f16_e64 v168, v168, v172
	v_add_f16_e64 v172, v167, v173
	;; [unrolled: 1-line block ×3, first 2 shown]
	v_sub_f16_e64 v140, v167, v140
	v_fma_f16 v172, -0.5, v172, v2
	v_fmac_f16_e64 v2, -0.5, v176
	s_delay_alu instid0(VALU_DEP_4) | instskip(NEXT) | instid1(VALU_DEP_1)
	v_add_f16_e64 v176, v195, v167
	v_add_f16_e64 v167, v176, v173
	v_sub_f16_e64 v173, v173, v194
	v_fma_f16 v176, 0xbb9c, v142, v172
	v_fmac_f16_e64 v172, 0x3b9c, v142
	s_delay_alu instid0(VALU_DEP_4)
	v_add_f16_e64 v167, v167, v194
	v_fma_f16 v194, 0x3b9c, v145, v2
	v_fmac_f16_e64 v2, 0xbb9c, v145
	v_fmac_f16_e64 v176, 0xb8b4, v145
	;; [unrolled: 1-line block ×3, first 2 shown]
	v_sub_f16_e64 v145, v135, v133
	v_fmac_f16_e64 v194, 0xb8b4, v142
	v_fmac_f16_e64 v2, 0x38b4, v142
	v_sub_f16_e64 v142, v129, v131
	v_fmac_f16_e64 v176, 0x34f2, v168
	v_fmac_f16_e64 v172, 0x34f2, v168
	v_add_f16_e64 v168, v129, v135
	v_add_f16_e64 v140, v140, v173
	;; [unrolled: 1-line block ×5, first 2 shown]
	s_delay_alu instid0(VALU_DEP_4) | instskip(SKIP_1) | instid1(VALU_DEP_4)
	v_fmac_f16_e64 v194, 0x34f2, v140
	v_fmac_f16_e64 v2, 0x34f2, v140
	v_fma_f16 v145, -0.5, v145, v3
	v_fmac_f16_e64 v3, -0.5, v168
	v_sub_f16_e64 v168, v130, v70
	v_add_f16_e64 v140, v130, v70
	s_delay_alu instid0(VALU_DEP_3) | instskip(NEXT) | instid1(VALU_DEP_3)
	v_fmamk_f16 v0, v1, 0xbb9c, v3
	v_fma_f16 v195, 0x3b9c, v168, v145
	v_fmac_f16_e64 v145, 0xbb9c, v168
	v_fmac_f16_e32 v3, 0x3b9c, v1
	s_delay_alu instid0(VALU_DEP_4) | instskip(NEXT) | instid1(VALU_DEP_4)
	v_fmac_f16_e64 v0, 0x38b4, v168
	v_fmac_f16_e64 v195, 0x38b4, v1
	s_delay_alu instid0(VALU_DEP_4)
	v_fmac_f16_e64 v145, 0xb8b4, v1
	v_sub_f16_e64 v1, v131, v129
	v_fmac_f16_e64 v3, 0xb8b4, v168
	v_sub_f16_e64 v129, v129, v135
	v_fmac_f16_e64 v195, 0x34f2, v142
	v_fmac_f16_e64 v145, 0x34f2, v142
	v_add_f16_e64 v1, v1, v184
	v_add_f16_e64 v142, v128, v130
	s_delay_alu instid0(VALU_DEP_2) | instskip(SKIP_3) | instid1(VALU_DEP_2)
	v_fmac_f16_e32 v0, 0x34f2, v1
	v_fmac_f16_e32 v3, 0x34f2, v1
	v_add_f16_e64 v1, v173, v131
	v_sub_f16_e64 v131, v131, v133
	v_add_f16_e64 v1, v1, v133
	v_sub_f16_e64 v133, v130, v132
	v_sub_f16_e64 v130, v132, v130
	s_delay_alu instid0(VALU_DEP_3) | instskip(SKIP_1) | instid1(VALU_DEP_1)
	v_add_f16_e64 v1, v1, v135
	v_sub_f16_e64 v135, v70, v134
	v_add_f16_e64 v133, v133, v135
	v_add_f16_e64 v135, v132, v134
	s_delay_alu instid0(VALU_DEP_1) | instskip(SKIP_2) | instid1(VALU_DEP_1)
	v_fma_f16 v135, -0.5, v135, v128
	v_fmac_f16_e64 v128, -0.5, v140
	v_add_f16_e64 v140, v142, v132
	v_add_f16_e64 v132, v140, v134
	s_delay_alu instid0(VALU_DEP_3) | instskip(SKIP_1) | instid1(VALU_DEP_3)
	v_fma_f16 v140, 0x3b9c, v131, v128
	v_fmac_f16_e64 v128, 0xbb9c, v131
	v_add_f16_e64 v132, v132, v70
	v_sub_f16_e64 v70, v134, v70
	s_delay_alu instid0(VALU_DEP_4)
	v_fmac_f16_e64 v140, 0xb8b4, v129
	v_fma_f16 v134, 0xbb9c, v129, v135
	v_fmac_f16_e64 v135, 0x3b9c, v129
	v_fmac_f16_e64 v128, 0x38b4, v129
	v_add_f16_e64 v70, v130, v70
	v_mul_f16_e64 v129, 0xb8b4, v195
	v_fmac_f16_e64 v134, 0xb8b4, v131
	v_fmac_f16_e64 v135, 0x38b4, v131
	v_mul_f16_e64 v131, 0xb4f2, v3
	v_fmac_f16_e64 v140, 0x34f2, v70
	v_fmac_f16_e64 v128, 0x34f2, v70
	;; [unrolled: 1-line block ×4, first 2 shown]
	s_delay_alu instid0(VALU_DEP_4) | instskip(NEXT) | instid1(VALU_DEP_4)
	v_mul_f16_e64 v130, 0x3b9c, v140
	v_fmac_f16_e64 v131, 0x3b9c, v128
	v_mul_f16_e64 v128, 0xb4f2, v128
	v_mul_f16_e64 v70, 0x38b4, v134
	;; [unrolled: 1-line block ×3, first 2 shown]
	v_fmac_f16_e64 v130, 0x34f2, v0
	v_mul_f16_e32 v0, 0xbb9c, v0
	v_fmac_f16_e64 v128, 0xbb9c, v3
	v_mul_f16_e64 v3, 0xba79, v145
	v_fmac_f16_e64 v70, 0x3a79, v195
	v_fmac_f16_e64 v129, 0x3a79, v134
	;; [unrolled: 1-line block ×5, first 2 shown]
	v_add_f16_e64 v135, v198, v130
	v_sub_f16_e64 v130, v198, v130
	v_add_f16_e64 v145, v167, v132
	v_sub_f16_e64 v132, v167, v132
	;; [unrolled: 2-line block ×3, first 2 shown]
	v_add_f16_e64 v134, v7, v1
	v_sub_f16_e32 v1, v7, v1
	v_add_f16_e64 v7, v175, v70
	v_sub_f16_e64 v70, v175, v70
	v_add_f16_e64 v142, v155, v3
	v_sub_f16_e64 v3, v155, v3
	;; [unrolled: 2-line block ×3, first 2 shown]
	v_pack_b32_f16 v0, v130, v0
	v_add_f16_e64 v130, v199, v152
	v_add_f16_e64 v140, v206, v131
	v_sub_f16_e64 v131, v206, v131
	v_pack_b32_f16 v70, v70, v129
	v_add_f16_e64 v129, v202, v169
	v_add_f16_e64 v130, v130, v170
	;; [unrolled: 1-line block ×3, first 2 shown]
	v_sub_f16_e64 v2, v2, v128
	v_add_f16_e64 v128, v172, v133
	v_add_f16_e64 v129, v129, v188
	;; [unrolled: 1-line block ×3, first 2 shown]
	v_sub_f16_e64 v133, v172, v133
	v_pack_b32_f16 v7, v7, v155
	v_pack_b32_f16 v1, v1, v132
	v_add_f16_e64 v129, v129, v116
	v_add_f16_e64 v130, v130, v5
	v_pack_b32_f16 v2, v131, v2
	v_pack_b32_f16 v135, v135, v167
	;; [unrolled: 1-line block ×3, first 2 shown]
	v_add_f16_e64 v131, v129, v16
	v_add_f16_e64 v132, v130, v11
	v_pack_b32_f16 v128, v142, v128
	v_pack_b32_f16 v134, v134, v145
	;; [unrolled: 1-line block ×3, first 2 shown]
	v_sub_f16_e64 v133, v74, v73
	v_pack_b32_f16 v131, v131, v132
	ds_store_b32 v147, v7 offset:1200
	ds_store_b32 v147, v135 offset:2400
	;; [unrolled: 1-line block ×9, first 2 shown]
	ds_store_2addr_b32 v147, v134, v131 offset1:100
	v_sub_f16_e64 v0, v150, v169
	v_sub_f16_e64 v1, v116, v188
	;; [unrolled: 1-line block ×6, first 2 shown]
	v_add_f16_e32 v0, v0, v1
	v_sub_f16_e64 v1, v150, v116
	v_sub_f16_e64 v116, v196, v193
	v_add_f16_e32 v3, v3, v7
	v_sub_f16_e64 v131, v5, v136
	v_sub_f16_e64 v132, v69, v75
	v_fma_f16 v134, 0x3b9c, v107, v89
	v_add_f16_e32 v7, v70, v116
	v_fma_f16 v70, 0xbb9c, v15, v203
	v_fma_f16 v116, 0x3b9c, v8, v197
	v_add_f16_e64 v128, v128, v131
	v_fmac_f16_e64 v134, 0x38b4, v101
	v_sub_f16_e64 v2, v169, v188
	v_fmac_f16_e32 v70, 0xb8b4, v13
	v_fmac_f16_e32 v116, 0x38b4, v10
	v_fma_f16 v140, 0x3b9c, v9, v174
	v_fma_f16 v154, 0x3b9c, v100, v78
	v_sub_f16_e64 v162, v72, v75
	v_fmac_f16_e32 v70, 0x34f2, v7
	v_fmac_f16_e32 v116, 0x34f2, v3
	v_fmac_f16_e64 v140, 0x38b4, v179
	v_fmac_f16_e64 v154, 0x38b4, v95
	;; [unrolled: 1-line block ×3, first 2 shown]
	v_mul_f16_e64 v131, 0x38b4, v70
	v_fmac_f16_e64 v203, 0x3b9c, v15
	v_fmac_f16_e64 v140, 0x34f2, v0
	;; [unrolled: 1-line block ×5, first 2 shown]
	v_mul_f16_e32 v116, 0xb8b4, v116
	v_fmac_f16_e32 v89, 0xbb9c, v107
	v_fmac_f16_e64 v203, 0x38b4, v13
	v_fmac_f16_e64 v174, 0xb8b4, v179
	v_add_f16_e64 v145, v140, v131
	v_fmac_f16_e32 v116, 0x3a79, v70
	v_sub_f16_e32 v70, v77, v72
	v_sub_f16_e32 v77, v77, v69
	v_fmac_f16_e64 v197, 0x34f2, v3
	v_fmac_f16_e32 v89, 0xb8b4, v101
	v_fmac_f16_e64 v203, 0x34f2, v7
	v_add_f16_e64 v70, v70, v132
	v_sub_f16_e64 v132, v76, v71
	v_fmac_f16_e64 v174, 0x34f2, v0
	v_fmac_f16_e32 v78, 0xbb9c, v100
	v_mul_f16_e64 v0, 0xba79, v197
	v_fmac_f16_e64 v154, 0x34f2, v70
	v_add_f16_e64 v132, v132, v133
	v_sub_f16_e64 v133, v158, v83
	v_fmac_f16_e32 v78, 0xb8b4, v95
	v_fmac_f16_e64 v0, 0x38b4, v203
	v_add_f16_e32 v10, v93, v81
	v_sub_f16_e64 v13, v129, v16
	v_add_f16_e64 v96, v96, v133
	v_sub_f16_e64 v133, v121, v82
	v_fmac_f16_e32 v78, 0x34f2, v70
	v_add_f16_e64 v7, v174, v0
	v_add_f16_e32 v10, v10, v82
	v_fmac_f16_e64 v134, 0x34f2, v96
	v_add_f16_e64 v94, v94, v133
	v_fma_f16 v133, 0xbb9c, v110, v92
	v_fmac_f16_e32 v92, 0x3b9c, v110
	v_fmac_f16_e32 v89, 0x34f2, v96
	v_sub_f16_e64 v11, v130, v11
	v_add_f16_e32 v10, v10, v121
	v_fmac_f16_e64 v133, 0xb8b4, v99
	v_fmac_f16_e32 v92, 0x38b4, v99
	v_sub_f16_e64 v0, v174, v0
	v_pack_b32_f16 v11, v13, v11
	v_mov_b32_e32 v107, v84
	v_fmac_f16_e64 v133, 0x34f2, v94
	v_fmac_f16_e32 v92, 0x34f2, v94
	s_delay_alu instid0(VALU_DEP_2) | instskip(NEXT) | instid1(VALU_DEP_2)
	v_mul_f16_e64 v135, 0x38b4, v133
	v_mul_f16_e32 v3, 0xba79, v92
	s_delay_alu instid0(VALU_DEP_2) | instskip(SKIP_1) | instid1(VALU_DEP_3)
	v_fmac_f16_e64 v135, 0x3a79, v134
	v_mul_f16_e64 v134, 0xb8b4, v134
	v_fmac_f16_e32 v3, 0xb8b4, v89
	s_delay_alu instid0(VALU_DEP_3) | instskip(NEXT) | instid1(VALU_DEP_3)
	v_add_f16_e64 v166, v154, v135
	v_fmac_f16_e64 v134, 0x3a79, v133
	v_add_f16_e64 v133, v170, v136
	s_delay_alu instid0(VALU_DEP_1) | instskip(NEXT) | instid1(VALU_DEP_1)
	v_fma_f16 v133, -0.5, v133, v199
	v_fma_f16 v142, 0xbb9c, v1, v133
	v_fmac_f16_e64 v133, 0x3b9c, v1
	s_delay_alu instid0(VALU_DEP_2) | instskip(NEXT) | instid1(VALU_DEP_2)
	v_fmac_f16_e64 v142, 0xb8b4, v2
	v_fmac_f16_e64 v133, 0x38b4, v2
	s_delay_alu instid0(VALU_DEP_2) | instskip(NEXT) | instid1(VALU_DEP_2)
	v_fmac_f16_e64 v142, 0x34f2, v128
	v_fmac_f16_e64 v133, 0x34f2, v128
	s_delay_alu instid0(VALU_DEP_2) | instskip(NEXT) | instid1(VALU_DEP_1)
	v_add_f16_e64 v150, v142, v116
	v_pack_b32_f16 v145, v145, v150
	v_add_f16_e64 v150, v71, v73
	s_delay_alu instid0(VALU_DEP_1) | instskip(SKIP_3) | instid1(VALU_DEP_4)
	v_fma_f16 v150, -0.5, v150, v79
	v_fmac_f16_e32 v79, -0.5, v14
	v_sub_f16_e32 v14, v71, v76
	v_sub_f16_e32 v76, v73, v74
	v_fma_f16 v155, 0xbb9c, v77, v150
	v_fmac_f16_e64 v150, 0x3b9c, v77
	s_delay_alu instid0(VALU_DEP_3) | instskip(SKIP_1) | instid1(VALU_DEP_4)
	v_add_f16_e32 v14, v14, v76
	v_mul_f16_e32 v76, 0x3b9c, v118
	v_fmac_f16_e64 v155, 0xb8b4, v162
	s_delay_alu instid0(VALU_DEP_4) | instskip(NEXT) | instid1(VALU_DEP_3)
	v_fmac_f16_e64 v150, 0x38b4, v162
	v_fmac_f16_e32 v76, 0x34f2, v115
	s_delay_alu instid0(VALU_DEP_3) | instskip(NEXT) | instid1(VALU_DEP_3)
	v_fmac_f16_e64 v155, 0x34f2, v132
	v_fmac_f16_e64 v150, 0x34f2, v132
	s_delay_alu instid0(VALU_DEP_3) | instskip(NEXT) | instid1(VALU_DEP_3)
	v_add_f16_e32 v118, v91, v76
	v_add_f16_e64 v167, v155, v134
	s_delay_alu instid0(VALU_DEP_3) | instskip(SKIP_2) | instid1(VALU_DEP_4)
	v_add_f16_e64 v9, v150, v3
	v_sub_f16_e64 v16, v155, v134
	v_sub_f16_e64 v3, v150, v3
	v_pack_b32_f16 v166, v166, v167
	ds_store_2addr_b32 v127, v145, v166 offset0:144 offset1:244
	v_sub_f16_e64 v145, v170, v152
	v_add_f16_e64 v152, v152, v5
	v_sub_f16_e64 v5, v136, v5
	s_delay_alu instid0(VALU_DEP_2) | instskip(NEXT) | instid1(VALU_DEP_2)
	v_fmac_f16_e64 v199, -0.5, v152
	v_add_f16_e64 v5, v145, v5
	s_delay_alu instid0(VALU_DEP_2) | instskip(SKIP_2) | instid1(VALU_DEP_3)
	v_fma_f16 v104, 0x3b9c, v2, v199
	v_fmac_f16_e64 v199, 0xbb9c, v2
	v_mul_f16_e32 v2, 0xba79, v89
	v_fmac_f16_e32 v104, 0xb8b4, v1
	s_delay_alu instid0(VALU_DEP_3) | instskip(SKIP_1) | instid1(VALU_DEP_4)
	v_fmac_f16_e64 v199, 0x38b4, v1
	v_mul_f16_e64 v1, 0xba79, v203
	v_fmac_f16_e32 v2, 0x38b4, v92
	s_delay_alu instid0(VALU_DEP_4) | instskip(NEXT) | instid1(VALU_DEP_4)
	v_fmac_f16_e32 v104, 0x34f2, v5
	v_fmac_f16_e64 v199, 0x34f2, v5
	s_delay_alu instid0(VALU_DEP_4) | instskip(SKIP_1) | instid1(VALU_DEP_4)
	v_fmac_f16_e64 v1, 0xb8b4, v197
	v_mul_f16_e64 v5, 0xb4f2, v139
	v_add_f16_e32 v115, v104, v4
	v_sub_f16_e32 v4, v104, v4
	s_delay_alu instid0(VALU_DEP_4) | instskip(NEXT) | instid1(VALU_DEP_4)
	v_add_f16_e64 v8, v133, v1
	v_fmac_f16_e64 v5, 0xbb9c, v138
	v_sub_f16_e64 v1, v133, v1
	v_pack_b32_f16 v114, v114, v115
	v_fma_f16 v115, 0x3b9c, v162, v79
	v_pack_b32_f16 v7, v7, v8
	v_add_f16_e32 v8, v78, v2
	v_fmac_f16_e64 v79, 0xbb9c, v162
	v_sub_f16_e32 v2, v78, v2
	v_fmac_f16_e32 v115, 0xb8b4, v77
	v_pack_b32_f16 v4, v6, v4
	v_pack_b32_f16 v8, v8, v9
	v_add_f16_e32 v9, v90, v113
	v_fmac_f16_e32 v79, 0x38b4, v77
	v_fmac_f16_e32 v115, 0x34f2, v14
	v_pack_b32_f16 v0, v0, v1
	ds_store_2addr_b32 v148, v7, v8 offset0:20 offset1:120
	v_add_f16_e32 v7, v80, v72
	v_add_f16_e32 v8, v17, v71
	;; [unrolled: 1-line block ×3, first 2 shown]
	v_fmac_f16_e32 v79, 0x34f2, v14
	v_mul_f16_e32 v14, 0xb4f2, v86
	v_add_f16_e32 v7, v7, v75
	v_add_f16_e32 v8, v8, v73
	v_add_f16_e64 v9, v9, v158
	v_sub_f16_e32 v12, v115, v88
	v_add_f16_e64 v136, v115, v88
	v_add_f16_e32 v7, v7, v69
	v_add_f16_e32 v8, v8, v74
	v_fmac_f16_e32 v14, 0xbb9c, v87
	v_add_f16_e64 v86, v199, v5
	v_pack_b32_f16 v1, v2, v3
	v_sub_f16_e32 v13, v7, v9
	v_sub_f16_e32 v15, v8, v10
	v_pack_b32_f16 v118, v118, v136
	v_add_nc_u32_e32 v136, 0xa00, v147
	v_pack_b32_f16 v18, v18, v86
	v_add_f16_e32 v86, v79, v14
	v_pack_b32_f16 v13, v13, v15
	v_sub_f16_e64 v15, v154, v135
	ds_store_2addr_b32 v102, v0, v1 offset0:112 offset1:212
	v_add_f16_e32 v0, v7, v9
	v_add_f16_e32 v1, v8, v10
	ds_store_2addr_b32 v97, v11, v13 offset0:64 offset1:164
	v_sub_f16_e64 v11, v140, v131
	v_sub_f16_e64 v13, v142, v116
	ds_store_2addr_b32 v136, v114, v118 offset0:60 offset1:160
	v_pack_b32_f16 v86, v105, v86
	v_add_nc_u32_e32 v118, 0x2600, v147
	v_pack_b32_f16 v0, v0, v1
	v_pack_b32_f16 v11, v11, v13
	;; [unrolled: 1-line block ×3, first 2 shown]
	ds_store_2addr_b32 v146, v18, v86 offset0:104 offset1:204
	ds_store_b32 v147, v0 offset:800
	ds_store_2addr_b32 v144, v11, v13 offset0:108 offset1:208
	v_sub_f16_e32 v11, v91, v76
	s_delay_alu instid0(VALU_DEP_1) | instskip(SKIP_3) | instid1(VALU_DEP_2)
	v_pack_b32_f16 v6, v11, v12
	ds_store_2addr_b32 v137, v4, v6 offset0:152 offset1:252
	v_sub_f16_e64 v4, v199, v5
	v_sub_f16_e32 v5, v79, v14
	v_pack_b32_f16 v4, v19, v4
	s_delay_alu instid0(VALU_DEP_2)
	v_pack_b32_f16 v5, v111, v5
	ds_store_2addr_b32 v118, v4, v5 offset0:68 offset1:168
	global_wb scope:SCOPE_SE
	s_wait_dscnt 0x0
	s_barrier_signal -1
	s_barrier_wait -1
	global_inv scope:SCOPE_SE
	s_clause 0x1
	global_load_b32 v2, v147, s[4:5] offset:12000
	global_load_b32 v4, v147, s[2:3] offset:11600
	ds_load_2addr_b32 v[0:1], v147 offset1:100
	s_wait_dscnt 0x0
	v_lshrrev_b32_e32 v5, 16, v0
	s_wait_loadcnt 0x1
	v_lshrrev_b32_e32 v3, 16, v2
	s_delay_alu instid0(VALU_DEP_1) | instskip(NEXT) | instid1(VALU_DEP_3)
	v_mul_f16_e32 v6, v0, v3
	v_mul_f16_e32 v3, v5, v3
	s_delay_alu instid0(VALU_DEP_2) | instskip(NEXT) | instid1(VALU_DEP_2)
	v_fmac_f16_e32 v6, v5, v2
	v_fma_f16 v0, v0, v2, -v3
	s_delay_alu instid0(VALU_DEP_1)
	v_pack_b32_f16 v0, v0, v6
	ds_store_b32 v147, v0
	s_clause 0x2
	global_load_b32 v0, v147, s[2:3] offset:6000
	global_load_b32 v5, v147, s[2:3] offset:6400
	;; [unrolled: 1-line block ×3, first 2 shown]
	ds_load_2addr_b32 v[2:3], v148 offset0:120 offset1:220
	ds_load_2addr_b32 v[69:70], v97 offset0:64 offset1:164
	s_wait_dscnt 0x1
	v_lshrrev_b32_e32 v8, 16, v3
	s_wait_loadcnt 0x2
	v_lshrrev_b32_e32 v7, 16, v0
	s_delay_alu instid0(VALU_DEP_1) | instskip(NEXT) | instid1(VALU_DEP_3)
	v_mul_f16_e32 v9, v3, v7
	v_mul_f16_e32 v7, v8, v7
	s_delay_alu instid0(VALU_DEP_2) | instskip(NEXT) | instid1(VALU_DEP_2)
	v_fmac_f16_e32 v9, v8, v0
	v_fma_f16 v0, v3, v0, -v7
	s_wait_loadcnt 0x1
	v_lshrrev_b32_e32 v3, 16, v5
	s_wait_dscnt 0x0
	v_lshrrev_b32_e32 v7, 16, v69
	v_pack_b32_f16 v0, v0, v9
	s_delay_alu instid0(VALU_DEP_3) | instskip(NEXT) | instid1(VALU_DEP_3)
	v_mul_f16_e32 v8, v69, v3
	v_mul_f16_e32 v3, v7, v3
	s_delay_alu instid0(VALU_DEP_2) | instskip(NEXT) | instid1(VALU_DEP_2)
	v_fmac_f16_e32 v8, v7, v5
	v_fma_f16 v3, v69, v5, -v3
	v_add_nc_u32_e32 v5, 0x1600, v147
	s_delay_alu instid0(VALU_DEP_2)
	v_pack_b32_f16 v3, v3, v8
	ds_store_2addr_b32 v5, v0, v3 offset0:92 offset1:192
	s_clause 0x3
	global_load_b32 v0, v147, s[2:3] offset:2400
	global_load_b32 v3, v147, s[2:3] offset:2800
	;; [unrolled: 1-line block ×4, first 2 shown]
	ds_load_2addr_b32 v[71:72], v85 offset0:88 offset1:188
	ds_load_2addr_b32 v[73:74], v127 offset0:144 offset1:244
	s_wait_dscnt 0x1
	v_lshrrev_b32_e32 v9, 16, v71
	s_wait_dscnt 0x0
	v_lshrrev_b32_e32 v11, 16, v74
	s_wait_loadcnt 0x3
	v_lshrrev_b32_e32 v8, 16, v0
	s_delay_alu instid0(VALU_DEP_1) | instskip(SKIP_1) | instid1(VALU_DEP_2)
	v_mul_f16_e32 v10, v71, v8
	v_mul_f16_e32 v8, v9, v8
	v_fmac_f16_e32 v10, v9, v0
	s_wait_loadcnt 0x0
	v_lshrrev_b32_e32 v9, 16, v7
	s_delay_alu instid0(VALU_DEP_3) | instskip(SKIP_4) | instid1(VALU_DEP_3)
	v_fma_f16 v0, v71, v0, -v8
	global_load_b32 v8, v147, s[2:3] offset:1600
	v_mul_f16_e32 v12, v74, v9
	v_mul_f16_e32 v9, v11, v9
	v_pack_b32_f16 v0, v0, v10
	v_fmac_f16_e32 v12, v11, v7
	s_delay_alu instid0(VALU_DEP_3) | instskip(SKIP_1) | instid1(VALU_DEP_2)
	v_fma_f16 v7, v74, v7, -v9
	v_add_nc_u32_e32 v9, 0x600, v147
	v_pack_b32_f16 v7, v7, v12
	ds_store_2addr_b32 v9, v7, v0 offset0:116 offset1:216
	s_clause 0x2
	global_load_b32 v0, v147, s[2:3] offset:4800
	global_load_b32 v7, v147, s[2:3] offset:5200
	;; [unrolled: 1-line block ×3, first 2 shown]
	ds_load_2addr_b32 v[74:75], v84 offset0:48 offset1:148
	ds_load_2addr_b32 v[76:77], v146 offset0:104 offset1:204
	s_wait_dscnt 0x1
	v_lshrrev_b32_e32 v11, 16, v74
	s_wait_dscnt 0x0
	v_lshrrev_b32_e32 v13, 16, v77
	s_wait_loadcnt 0x2
	v_lshrrev_b32_e32 v10, 16, v0
	s_delay_alu instid0(VALU_DEP_1) | instskip(SKIP_1) | instid1(VALU_DEP_2)
	v_mul_f16_e32 v12, v74, v10
	v_mul_f16_e32 v10, v11, v10
	v_fmac_f16_e32 v12, v11, v0
	s_wait_loadcnt 0x0
	v_lshrrev_b32_e32 v11, 16, v9
	s_delay_alu instid0(VALU_DEP_3) | instskip(SKIP_4) | instid1(VALU_DEP_3)
	v_fma_f16 v0, v74, v0, -v10
	global_load_b32 v10, v147, s[2:3] offset:4000
	v_mul_f16_e32 v14, v77, v11
	v_mul_f16_e32 v11, v13, v11
	v_pack_b32_f16 v0, v0, v12
	v_fmac_f16_e32 v14, v13, v9
	s_delay_alu instid0(VALU_DEP_3) | instskip(SKIP_1) | instid1(VALU_DEP_2)
	v_fma_f16 v9, v77, v9, -v11
	v_add_nc_u32_e32 v11, 0x1000, v147
	v_pack_b32_f16 v9, v9, v14
	ds_store_2addr_b32 v11, v9, v0 offset0:76 offset1:176
	s_clause 0x1
	global_load_b32 v0, v147, s[2:3] offset:6800
	global_load_b32 v9, v147, s[2:3] offset:7200
	v_lshrrev_b32_e32 v11, 16, v70
	s_clause 0x1
	global_load_b32 v12, v147, s[2:3] offset:7600
	global_load_b32 v13, v147, s[2:3] offset:8000
	s_wait_loadcnt 0x3
	v_lshrrev_b32_e32 v14, 16, v0
	s_delay_alu instid0(VALU_DEP_1) | instskip(SKIP_1) | instid1(VALU_DEP_2)
	v_mul_f16_e32 v15, v11, v14
	v_mul_f16_e32 v14, v70, v14
	v_fma_f16 v15, v70, v0, -v15
	ds_load_2addr_b32 v[69:70], v144 offset0:8 offset1:108
	v_fmac_f16_e32 v14, v11, v0
	s_wait_loadcnt 0x2
	v_lshrrev_b32_e32 v0, 16, v9
	s_wait_dscnt 0x0
	v_lshrrev_b32_e32 v11, 16, v69
	s_delay_alu instid0(VALU_DEP_2) | instskip(NEXT) | instid1(VALU_DEP_2)
	v_mul_f16_e32 v16, v69, v0
	v_mul_f16_e32 v0, v11, v0
	s_delay_alu instid0(VALU_DEP_2) | instskip(SKIP_1) | instid1(VALU_DEP_3)
	v_fmac_f16_e32 v16, v11, v9
	v_add_nc_u32_e32 v11, 0x1a00, v147
	v_fma_f16 v0, v69, v9, -v0
	v_pack_b32_f16 v9, v15, v14
	s_delay_alu instid0(VALU_DEP_2)
	v_pack_b32_f16 v0, v0, v16
	ds_store_2addr_b32 v11, v9, v0 offset0:36 offset1:136
	s_clause 0x1
	global_load_b32 v0, v147, s[2:3] offset:9600
	global_load_b32 v9, v147, s[2:3] offset:9200
	ds_load_2addr_b32 v[77:78], v117 offset0:96 offset1:196
	ds_load_2addr_b32 v[79:80], v137 offset0:152 offset1:252
	s_wait_dscnt 0x1
	v_lshrrev_b32_e32 v14, 16, v77
	s_wait_dscnt 0x0
	v_lshrrev_b32_e32 v16, 16, v80
	s_wait_loadcnt 0x1
	v_lshrrev_b32_e32 v11, 16, v0
	s_delay_alu instid0(VALU_DEP_1) | instskip(SKIP_1) | instid1(VALU_DEP_2)
	v_mul_f16_e32 v15, v77, v11
	v_mul_f16_e32 v11, v14, v11
	v_fmac_f16_e32 v15, v14, v0
	s_wait_loadcnt 0x0
	v_lshrrev_b32_e32 v14, 16, v9
	s_delay_alu instid0(VALU_DEP_3) | instskip(SKIP_4) | instid1(VALU_DEP_3)
	v_fma_f16 v0, v77, v0, -v11
	global_load_b32 v11, v147, s[2:3] offset:8800
	v_mul_f16_e32 v17, v80, v14
	v_mul_f16_e32 v14, v16, v14
	v_pack_b32_f16 v0, v0, v15
	v_fmac_f16_e32 v17, v16, v9
	s_delay_alu instid0(VALU_DEP_3) | instskip(SKIP_1) | instid1(VALU_DEP_2)
	v_fma_f16 v9, v80, v9, -v14
	v_add_nc_u32_e32 v14, 0x2200, v147
	v_pack_b32_f16 v9, v9, v17
	ds_store_2addr_b32 v14, v9, v0 offset0:124 offset1:224
	s_clause 0x1
	global_load_b32 v0, v147, s[2:3] offset:400
	global_load_b32 v14, v147, s[2:3] offset:800
	v_lshrrev_b32_e32 v9, 16, v1
	s_wait_loadcnt 0x1
	v_lshrrev_b32_e32 v15, 16, v0
	s_delay_alu instid0(VALU_DEP_1) | instskip(SKIP_1) | instid1(VALU_DEP_2)
	v_mul_f16_e32 v16, v9, v15
	v_mul_f16_e32 v15, v1, v15
	v_fma_f16 v16, v1, v0, -v16
	s_delay_alu instid0(VALU_DEP_2) | instskip(SKIP_3) | instid1(VALU_DEP_2)
	v_fmac_f16_e32 v15, v9, v0
	global_load_b32 v9, v147, s[2:3] offset:1200
	v_lshrrev_b32_e32 v1, 16, v8
	v_lshrrev_b32_e32 v0, 16, v73
	v_mul_f16_e32 v18, v73, v1
	s_delay_alu instid0(VALU_DEP_2) | instskip(NEXT) | instid1(VALU_DEP_2)
	v_mul_f16_e32 v17, v0, v1
	v_fmac_f16_e32 v18, v0, v8
	ds_load_2addr_b32 v[0:1], v160 offset0:72 offset1:172
	v_fma_f16 v17, v73, v8, -v17
	s_wait_dscnt 0x0
	v_lshrrev_b32_e32 v19, 16, v1
	s_wait_loadcnt 0x0
	v_lshrrev_b32_e32 v8, 16, v9
	s_delay_alu instid0(VALU_DEP_1) | instskip(NEXT) | instid1(VALU_DEP_3)
	v_mul_f16_e32 v69, v1, v8
	v_mul_f16_e32 v8, v19, v8
	s_delay_alu instid0(VALU_DEP_2) | instskip(NEXT) | instid1(VALU_DEP_2)
	v_fmac_f16_e32 v69, v19, v9
	v_fma_f16 v1, v1, v9, -v8
	v_pack_b32_f16 v8, v17, v18
	v_lshrrev_b32_e32 v17, 16, v10
	s_delay_alu instid0(VALU_DEP_3) | instskip(SKIP_3) | instid1(VALU_DEP_1)
	v_pack_b32_f16 v1, v1, v69
	ds_store_2addr_b32 v127, v1, v8 offset0:44 offset1:144
	v_lshrrev_b32_e32 v1, 16, v72
	v_lshrrev_b32_e32 v8, 16, v3
	v_mul_f16_e32 v9, v1, v8
	v_mul_f16_e32 v8, v72, v8
	s_delay_alu instid0(VALU_DEP_2) | instskip(NEXT) | instid1(VALU_DEP_2)
	v_fma_f16 v9, v72, v3, -v9
	v_fmac_f16_e32 v8, v1, v3
	global_load_b32 v1, v147, s[2:3] offset:3600
	ds_load_2addr_b32 v[71:72], v157 offset0:32 offset1:132
	v_lshrrev_b32_e32 v3, 16, v76
	s_delay_alu instid0(VALU_DEP_1) | instskip(SKIP_1) | instid1(VALU_DEP_2)
	v_mul_f16_e32 v18, v3, v17
	v_mul_f16_e32 v17, v76, v17
	v_fma_f16 v18, v76, v10, -v18
	s_delay_alu instid0(VALU_DEP_2) | instskip(SKIP_4) | instid1(VALU_DEP_1)
	v_fmac_f16_e32 v17, v3, v10
	s_wait_dscnt 0x0
	v_lshrrev_b32_e32 v10, 16, v72
	s_wait_loadcnt 0x0
	v_lshrrev_b32_e32 v3, 16, v1
	v_mul_f16_e32 v19, v72, v3
	s_delay_alu instid0(VALU_DEP_3) | instskip(NEXT) | instid1(VALU_DEP_2)
	v_mul_f16_e32 v3, v10, v3
	v_fmac_f16_e32 v19, v10, v1
	s_delay_alu instid0(VALU_DEP_2) | instskip(SKIP_2) | instid1(VALU_DEP_3)
	v_fma_f16 v1, v72, v1, -v3
	v_pack_b32_f16 v3, v18, v17
	v_lshrrev_b32_e32 v18, 16, v11
	v_pack_b32_f16 v1, v1, v19
	ds_store_2addr_b32 v157, v1, v3 offset0:132 offset1:232
	v_lshrrev_b32_e32 v1, 16, v75
	v_lshrrev_b32_e32 v3, 16, v7
	s_delay_alu instid0(VALU_DEP_1) | instskip(SKIP_1) | instid1(VALU_DEP_2)
	v_mul_f16_e32 v10, v1, v3
	v_mul_f16_e32 v3, v75, v3
	v_fma_f16 v10, v75, v7, -v10
	s_delay_alu instid0(VALU_DEP_2) | instskip(SKIP_2) | instid1(VALU_DEP_1)
	v_fmac_f16_e32 v3, v1, v7
	v_lshrrev_b32_e32 v1, 16, v70
	v_lshrrev_b32_e32 v7, 16, v12
	v_mul_f16_e32 v17, v1, v7
	v_mul_f16_e32 v7, v70, v7
	s_delay_alu instid0(VALU_DEP_2) | instskip(NEXT) | instid1(VALU_DEP_2)
	v_fma_f16 v17, v70, v12, -v17
	v_fmac_f16_e32 v7, v1, v12
	global_load_b32 v1, v147, s[2:3] offset:8400
	ds_load_2addr_b32 v[69:70], v108 offset0:80 offset1:180
	v_lshrrev_b32_e32 v12, 16, v79
	s_delay_alu instid0(VALU_DEP_1) | instskip(SKIP_1) | instid1(VALU_DEP_2)
	v_mul_f16_e32 v19, v12, v18
	v_mul_f16_e32 v18, v79, v18
	v_fma_f16 v19, v79, v11, -v19
	s_delay_alu instid0(VALU_DEP_2) | instskip(SKIP_4) | instid1(VALU_DEP_1)
	v_fmac_f16_e32 v18, v12, v11
	s_wait_dscnt 0x0
	v_lshrrev_b32_e32 v12, 16, v70
	s_wait_loadcnt 0x0
	v_lshrrev_b32_e32 v11, 16, v1
	v_mul_f16_e32 v72, v70, v11
	s_delay_alu instid0(VALU_DEP_3) | instskip(NEXT) | instid1(VALU_DEP_2)
	v_mul_f16_e32 v11, v12, v11
	v_fmac_f16_e32 v72, v12, v1
	s_delay_alu instid0(VALU_DEP_2) | instskip(SKIP_2) | instid1(VALU_DEP_3)
	v_fma_f16 v1, v70, v1, -v11
	v_pack_b32_f16 v11, v19, v18
	v_lshrrev_b32_e32 v12, 16, v78
	v_pack_b32_f16 v1, v1, v72
	ds_store_2addr_b32 v137, v1, v11 offset0:52 offset1:152
	s_clause 0x2
	global_load_b32 v1, v147, s[2:3] offset:10000
	global_load_b32 v11, v147, s[2:3] offset:11200
	;; [unrolled: 1-line block ×3, first 2 shown]
	ds_load_2addr_b32 v[72:73], v159 offset0:40 offset1:140
	s_wait_dscnt 0x0
	v_lshrrev_b32_e32 v74, 16, v73
	s_wait_loadcnt 0x2
	v_lshrrev_b32_e32 v19, 16, v1
	s_delay_alu instid0(VALU_DEP_1) | instskip(SKIP_1) | instid1(VALU_DEP_2)
	v_mul_f16_e32 v70, v12, v19
	v_mul_f16_e32 v19, v78, v19
	v_fma_f16 v70, v78, v1, -v70
	s_delay_alu instid0(VALU_DEP_2) | instskip(SKIP_3) | instid1(VALU_DEP_1)
	v_fmac_f16_e32 v19, v12, v1
	global_load_b32 v1, v147, s[2:3] offset:10800
	s_wait_loadcnt 0x0
	v_lshrrev_b32_e32 v12, 16, v1
	v_mul_f16_e32 v75, v73, v12
	v_mul_f16_e32 v12, v74, v12
	s_delay_alu instid0(VALU_DEP_2) | instskip(NEXT) | instid1(VALU_DEP_2)
	v_fmac_f16_e32 v75, v74, v1
	v_fma_f16 v1, v73, v1, -v12
	ds_load_2addr_b32 v[73:74], v102 offset0:112 offset1:212
	v_lshrrev_b32_e32 v12, 16, v11
	v_pack_b32_f16 v1, v1, v75
	s_wait_dscnt 0x0
	v_lshrrev_b32_e32 v76, 16, v73
	s_delay_alu instid0(VALU_DEP_3) | instskip(NEXT) | instid1(VALU_DEP_2)
	v_mul_f16_e32 v77, v73, v12
	v_mul_f16_e32 v12, v76, v12
	s_delay_alu instid0(VALU_DEP_2) | instskip(NEXT) | instid1(VALU_DEP_2)
	v_fmac_f16_e32 v77, v76, v11
	v_fma_f16 v11, v73, v11, -v12
	s_delay_alu instid0(VALU_DEP_1) | instskip(SKIP_3) | instid1(VALU_DEP_1)
	v_pack_b32_f16 v11, v11, v77
	ds_store_2addr_b32 v159, v1, v11 offset0:140 offset1:240
	v_lshrrev_b32_e32 v1, 16, v0
	v_lshrrev_b32_e32 v11, 16, v14
	v_mul_f16_e32 v12, v1, v11
	v_mul_f16_e32 v11, v0, v11
	s_delay_alu instid0(VALU_DEP_2) | instskip(NEXT) | instid1(VALU_DEP_2)
	v_fma_f16 v0, v0, v14, -v12
	v_fmac_f16_e32 v11, v1, v14
	v_lshrrev_b32_e32 v1, 16, v71
	v_lshrrev_b32_e32 v12, 16, v5
	s_delay_alu instid0(VALU_DEP_3) | instskip(NEXT) | instid1(VALU_DEP_2)
	v_pack_b32_f16 v0, v0, v11
	v_mul_f16_e32 v14, v1, v12
	v_mul_f16_e32 v12, v71, v12
	s_delay_alu instid0(VALU_DEP_2) | instskip(NEXT) | instid1(VALU_DEP_2)
	v_fma_f16 v14, v71, v5, -v14
	v_fmac_f16_e32 v12, v1, v5
	v_pack_b32_f16 v1, v16, v15
	ds_store_2addr_b32 v147, v1, v0 offset0:100 offset1:200
	v_pack_b32_f16 v0, v9, v8
	v_pack_b32_f16 v1, v14, v12
	ds_store_2addr_b32 v136, v0, v1 offset0:60 offset1:160
	v_lshrrev_b32_e32 v0, 16, v2
	v_lshrrev_b32_e32 v1, 16, v6
	s_delay_alu instid0(VALU_DEP_1) | instskip(SKIP_1) | instid1(VALU_DEP_2)
	v_mul_f16_e32 v5, v0, v1
	v_mul_f16_e32 v1, v2, v1
	v_fma_f16 v2, v2, v6, -v5
	s_delay_alu instid0(VALU_DEP_2) | instskip(SKIP_2) | instid1(VALU_DEP_3)
	v_fmac_f16_e32 v1, v0, v6
	v_lshrrev_b32_e32 v0, 16, v69
	v_lshrrev_b32_e32 v5, 16, v13
	v_pack_b32_f16 v1, v2, v1
	s_delay_alu instid0(VALU_DEP_2) | instskip(SKIP_1) | instid1(VALU_DEP_2)
	v_mul_f16_e32 v6, v0, v5
	v_mul_f16_e32 v5, v69, v5
	v_fma_f16 v6, v69, v13, -v6
	s_delay_alu instid0(VALU_DEP_2)
	v_fmac_f16_e32 v5, v0, v13
	v_pack_b32_f16 v0, v10, v3
	v_lshrrev_b32_e32 v3, 16, v4
	ds_store_2addr_b32 v148, v0, v1 offset0:20 offset1:120
	v_pack_b32_f16 v0, v17, v7
	v_pack_b32_f16 v1, v6, v5
	ds_store_2addr_b32 v144, v0, v1 offset0:108 offset1:208
	v_lshrrev_b32_e32 v0, 16, v72
	v_lshrrev_b32_e32 v1, 16, v18
	s_delay_alu instid0(VALU_DEP_1) | instskip(SKIP_1) | instid1(VALU_DEP_2)
	v_mul_f16_e32 v2, v0, v1
	v_mul_f16_e32 v1, v72, v1
	v_fma_f16 v2, v72, v18, -v2
	s_delay_alu instid0(VALU_DEP_2) | instskip(SKIP_1) | instid1(VALU_DEP_2)
	v_fmac_f16_e32 v1, v0, v18
	v_lshrrev_b32_e32 v0, 16, v74
	v_pack_b32_f16 v1, v2, v1
	s_delay_alu instid0(VALU_DEP_2) | instskip(SKIP_1) | instid1(VALU_DEP_2)
	v_mul_f16_e32 v5, v0, v3
	v_mul_f16_e32 v3, v74, v3
	v_fma_f16 v5, v74, v4, -v5
	s_delay_alu instid0(VALU_DEP_2)
	v_fmac_f16_e32 v3, v0, v4
	v_pack_b32_f16 v0, v70, v19
	ds_store_2addr_b32 v118, v0, v1 offset0:68 offset1:168
	v_pack_b32_f16 v0, v5, v3
	ds_store_b32 v147, v0 offset:11600
	global_wb scope:SCOPE_SE
	s_wait_dscnt 0x0
	s_barrier_signal -1
	s_barrier_wait -1
	global_inv scope:SCOPE_SE
	ds_load_2addr_b32 v[71:72], v144 offset0:8 offset1:108
	ds_load_2addr_b32 v[69:70], v117 offset0:96 offset1:196
	;; [unrolled: 1-line block ×4, first 2 shown]
	ds_load_2addr_b32 v[86:87], v147 offset1:100
	ds_load_2addr_b32 v[75:76], v108 offset0:80 offset1:180
	ds_load_2addr_b32 v[73:74], v159 offset0:40 offset1:140
	;; [unrolled: 1-line block ×5, first 2 shown]
	s_wait_dscnt 0x9
	v_lshrrev_b32_e32 v5, 16, v71
	s_wait_dscnt 0x8
	v_sub_f16_e32 v0, v71, v69
	s_wait_dscnt 0x6
	v_sub_f16_e32 v1, v2, v95
	v_lshrrev_b32_e32 v8, 16, v95
	v_lshrrev_b32_e32 v9, 16, v69
	s_wait_dscnt 0x5
	v_lshrrev_b32_e32 v11, 16, v86
	v_sub_f16_e32 v15, v95, v69
	v_add_f16_e32 v0, v1, v0
	v_add_f16_e32 v1, v95, v69
	v_sub_f16_e32 v10, v8, v9
	v_sub_f16_e32 v13, v5, v9
	s_wait_dscnt 0x1
	v_sub_f16_e32 v16, v82, v80
	v_lshrrev_b32_e32 v17, 16, v82
	v_fma_f16 v4, -0.5, v1, v86
	v_lshrrev_b32_e32 v1, 16, v2
	v_lshrrev_b32_e32 v18, 16, v76
	;; [unrolled: 1-line block ×4, first 2 shown]
	s_wait_dscnt 0x0
	v_lshrrev_b32_e32 v88, 16, v78
	v_sub_f16_e32 v6, v1, v5
	v_sub_f16_e32 v19, v17, v18
	;; [unrolled: 1-line block ×4, first 2 shown]
	v_add_f16_e32 v89, v90, v91
	v_fmamk_f16 v7, v6, 0x3b9c, v4
	v_fmac_f16_e32 v4, 0xbb9c, v6
	v_sub_f16_e32 v93, v18, v91
	s_delay_alu instid0(VALU_DEP_3) | instskip(NEXT) | instid1(VALU_DEP_3)
	v_fmac_f16_e32 v7, 0xb8b4, v10
	v_fmac_f16_e32 v4, 0x38b4, v10
	s_delay_alu instid0(VALU_DEP_2) | instskip(NEXT) | instid1(VALU_DEP_2)
	v_fmac_f16_e32 v7, 0x34f2, v0
	v_fmac_f16_e32 v4, 0x34f2, v0
	v_add_f16_e32 v0, v1, v5
	v_sub_f16_e32 v5, v9, v5
	s_delay_alu instid0(VALU_DEP_2) | instskip(SKIP_2) | instid1(VALU_DEP_2)
	v_fma_f16 v12, -0.5, v0, v11
	v_add_f16_e32 v0, v8, v9
	v_sub_f16_e32 v9, v95, v2
	v_fmac_f16_e32 v11, -0.5, v0
	v_sub_f16_e32 v0, v1, v8
	v_sub_f16_e32 v1, v8, v1
	;; [unrolled: 1-line block ×3, first 2 shown]
	s_delay_alu instid0(VALU_DEP_3) | instskip(SKIP_1) | instid1(VALU_DEP_3)
	v_add_f16_e32 v0, v0, v13
	v_sub_f16_e32 v13, v2, v71
	v_add_f16_e32 v8, v9, v8
	v_add_f16_e32 v1, v1, v5
	v_sub_f16_e32 v5, v90, v17
	v_sub_f16_e32 v9, v91, v18
	v_fmamk_f16 v14, v13, 0xbb9c, v11
	v_fmac_f16_e32 v11, 0x3b9c, v13
	s_delay_alu instid0(VALU_DEP_3) | instskip(NEXT) | instid1(VALU_DEP_3)
	v_add_f16_e32 v5, v5, v9
	v_fmac_f16_e32 v14, 0x38b4, v15
	s_delay_alu instid0(VALU_DEP_3) | instskip(SKIP_1) | instid1(VALU_DEP_3)
	v_fmac_f16_e32 v11, 0xb8b4, v15
	v_add_f16_e32 v9, v82, v76
	v_fmac_f16_e32 v14, 0x34f2, v0
	s_delay_alu instid0(VALU_DEP_3) | instskip(SKIP_1) | instid1(VALU_DEP_4)
	v_fmac_f16_e32 v11, 0x34f2, v0
	v_sub_f16_e32 v0, v76, v74
	v_fma_f16 v9, -0.5, v9, v78
	s_delay_alu instid0(VALU_DEP_2) | instskip(SKIP_1) | instid1(VALU_DEP_1)
	v_add_f16_e32 v0, v16, v0
	v_add_f16_e32 v16, v80, v74
	v_fma_f16 v16, -0.5, v16, v78
	s_delay_alu instid0(VALU_DEP_1) | instskip(SKIP_1) | instid1(VALU_DEP_2)
	v_fmamk_f16 v83, v19, 0x3b9c, v16
	v_fmac_f16_e32 v16, 0xbb9c, v19
	v_fmac_f16_e32 v83, 0xb8b4, v92
	s_delay_alu instid0(VALU_DEP_2) | instskip(NEXT) | instid1(VALU_DEP_2)
	v_fmac_f16_e32 v16, 0x38b4, v92
	v_fmac_f16_e32 v83, 0x34f2, v0
	s_delay_alu instid0(VALU_DEP_2) | instskip(SKIP_2) | instid1(VALU_DEP_2)
	v_fmac_f16_e32 v16, 0x34f2, v0
	v_add_f16_e32 v0, v17, v18
	v_sub_f16_e32 v18, v80, v82
	v_fma_f16 v0, -0.5, v0, v88
	v_fmac_f16_e32 v88, -0.5, v89
	v_sub_f16_e32 v89, v17, v90
	v_sub_f16_e32 v17, v74, v76
	s_delay_alu instid0(VALU_DEP_2) | instskip(SKIP_1) | instid1(VALU_DEP_3)
	v_add_f16_e32 v89, v89, v93
	v_sub_f16_e32 v93, v82, v76
	v_add_f16_e32 v17, v18, v17
	v_fmamk_f16 v18, v99, 0x3b9c, v0
	v_fmac_f16_e32 v0, 0xbb9c, v99
	s_delay_alu instid0(VALU_DEP_4) | instskip(SKIP_1) | instid1(VALU_DEP_4)
	v_fmamk_f16 v94, v93, 0xbb9c, v88
	v_fmac_f16_e32 v88, 0x3b9c, v93
	v_fmac_f16_e32 v18, 0x38b4, v93
	s_delay_alu instid0(VALU_DEP_4) | instskip(NEXT) | instid1(VALU_DEP_4)
	v_fmac_f16_e32 v0, 0xb8b4, v93
	v_fmac_f16_e32 v94, 0x38b4, v99
	s_delay_alu instid0(VALU_DEP_4) | instskip(NEXT) | instid1(VALU_DEP_4)
	;; [unrolled: 3-line block ×4, first 2 shown]
	v_fmac_f16_e32 v88, 0x34f2, v89
	v_mul_f16_e32 v100, 0xb8b4, v18
	s_delay_alu instid0(VALU_DEP_2) | instskip(SKIP_1) | instid1(VALU_DEP_2)
	v_mul_f16_e32 v101, 0xbb9c, v88
	v_mul_f16_e32 v104, 0xb4f2, v88
	v_fmac_f16_e32 v101, 0xb4f2, v16
	s_delay_alu instid0(VALU_DEP_2) | instskip(SKIP_2) | instid1(VALU_DEP_3)
	v_fmac_f16_e32 v104, 0x3b9c, v16
	v_mul_f16_e32 v16, 0xbb9c, v94
	v_mul_f16_e32 v94, 0x34f2, v94
	v_add_f16_e32 v88, v11, v104
	s_delay_alu instid0(VALU_DEP_3) | instskip(NEXT) | instid1(VALU_DEP_3)
	v_fmac_f16_e32 v16, 0x34f2, v83
	v_fmac_f16_e32 v94, 0x3b9c, v83
	v_add_f16_e32 v83, v4, v101
	s_delay_alu instid0(VALU_DEP_1) | instskip(NEXT) | instid1(VALU_DEP_4)
	v_pack_b32_f16 v89, v83, v88
	v_add_f16_e32 v83, v7, v16
	s_delay_alu instid0(VALU_DEP_4)
	v_add_f16_e32 v88, v14, v94
	v_sub_f16_e32 v7, v7, v16
	v_add_f16_e32 v16, v2, v71
	v_sub_f16_e32 v14, v14, v94
	v_fmamk_f16 v94, v15, 0x3b9c, v12
	v_pack_b32_f16 v88, v83, v88
	v_fmamk_f16 v83, v92, 0xbb9c, v9
	v_fma_f16 v16, -0.5, v16, v86
	v_fmac_f16_e32 v12, 0xbb9c, v15
	v_fmac_f16_e32 v94, 0x38b4, v13
	;; [unrolled: 1-line block ×4, first 2 shown]
	v_pack_b32_f16 v91, v7, v14
	v_fmac_f16_e32 v12, 0xb8b4, v13
	v_fmac_f16_e32 v94, 0x34f2, v1
	;; [unrolled: 1-line block ×4, first 2 shown]
	v_lshrrev_b32_e32 v15, 16, v70
	v_fmac_f16_e32 v12, 0x34f2, v1
	v_pk_add_f16 v1, v78, v80
	v_fmac_f16_e32 v9, 0x34f2, v17
	v_fmac_f16_e32 v100, 0x3a79, v83
	v_mul_f16_e32 v83, 0x38b4, v83
	v_sub_f16_e32 v13, v96, v70
	v_pk_add_f16 v1, v1, v82
	s_delay_alu instid0(VALU_DEP_3) | instskip(SKIP_2) | instid1(VALU_DEP_4)
	v_fmac_f16_e32 v83, 0x3a79, v18
	v_fmamk_f16 v18, v10, 0xbb9c, v16
	v_fmac_f16_e32 v16, 0x3b9c, v10
	v_pk_add_f16 v1, v1, v76
	v_sub_f16_e32 v10, v96, v3
	v_sub_f16_e32 v14, v94, v83
	v_fmac_f16_e32 v18, 0xb8b4, v6
	v_fmac_f16_e32 v16, 0x38b4, v6
	v_mul_f16_e32 v6, 0xb8b4, v0
	v_pk_add_f16 v1, v1, v74
	v_add_f16_e32 v5, v94, v83
	v_fmac_f16_e32 v18, 0x34f2, v8
	v_fmac_f16_e32 v16, 0x34f2, v8
	v_mul_f16_e32 v8, 0xba79, v0
	v_pk_add_f16 v0, v86, v95
	v_fmac_f16_e32 v6, 0xba79, v9
	v_sub_f16_e32 v7, v18, v100
	s_delay_alu instid0(VALU_DEP_4) | instskip(NEXT) | instid1(VALU_DEP_4)
	v_fmac_f16_e32 v8, 0x38b4, v9
	v_pk_add_f16 v0, v0, v2
	v_sub_f16_e32 v2, v4, v101
	s_delay_alu instid0(VALU_DEP_4)
	v_pack_b32_f16 v90, v7, v14
	v_add_f16_e32 v7, v18, v100
	v_sub_f16_e32 v4, v16, v6
	v_pk_add_f16 v0, v0, v71
	v_lshrrev_b32_e32 v9, 16, v3
	v_lshrrev_b32_e32 v18, 16, v87
	v_pack_b32_f16 v83, v7, v5
	v_sub_f16_e32 v5, v12, v8
	v_pk_add_f16 v0, v0, v69
	v_sub_f16_e32 v7, v72, v70
	s_delay_alu instid0(VALU_DEP_2)
	v_pk_add_f16 v82, v0, v1
	v_pk_add_f16 v93, v0, v1 neg_lo:[0,1] neg_hi:[0,1]
	v_add_f16_e32 v0, v16, v6
	v_add_f16_e32 v1, v12, v8
	v_sub_f16_e32 v6, v11, v104
	v_sub_f16_e32 v8, v3, v72
	v_add_f16_e32 v12, v96, v70
	v_lshrrev_b32_e32 v11, 16, v96
	v_pack_b32_f16 v92, v0, v1
	ds_load_2addr_b32 v[94:95], v127 offset0:144 offset1:244
	ds_load_2addr_b32 v[99:100], v146 offset0:104 offset1:204
	;; [unrolled: 1-line block ×5, first 2 shown]
	global_wb scope:SCOPE_SE
	s_wait_dscnt 0x0
	s_barrier_signal -1
	s_barrier_wait -1
	global_inv scope:SCOPE_SE
	ds_store_2addr_b64 v163, v[82:83], v[88:89] offset1:1
	ds_store_2addr_b64 v163, v[92:93], v[90:91] offset0:2 offset1:3
	v_pack_b32_f16 v82, v2, v6
	v_pk_add_f16 v2, v87, v96
	v_pack_b32_f16 v83, v4, v5
	v_add_f16_e32 v4, v3, v72
	v_lshrrev_b32_e32 v5, 16, v72
	v_sub_f16_e32 v17, v11, v15
	v_pk_add_f16 v2, v2, v3
	v_sub_f16_e32 v3, v3, v96
	v_sub_f16_e32 v6, v70, v72
	ds_store_b64 v163, v[82:83] offset:32
	v_lshrrev_b32_e32 v82, 16, v94
	v_pk_add_f16 v2, v2, v72
	v_lshrrev_b32_e32 v76, 16, v99
	v_lshrrev_b32_e32 v71, 16, v113
	;; [unrolled: 1-line block ×3, first 2 shown]
	v_fma_f16 v4, -0.5, v4, v87
	v_pk_add_f16 v14, v2, v70
	v_add_f16_e32 v2, v3, v7
	v_fma_f16 v7, -0.5, v12, v87
	v_sub_f16_e32 v12, v9, v5
	v_sub_f16_e32 v3, v5, v15
	v_lshrrev_b32_e32 v70, 16, v110
	v_sub_f16_e32 v80, v76, v78
	v_sub_f16_e32 v86, v71, v78
	v_fmamk_f16 v16, v12, 0x3b9c, v7
	v_fmac_f16_e32 v7, 0xbb9c, v12
	v_sub_f16_e32 v72, v70, v71
	v_sub_f16_e32 v88, v99, v0
	v_add_f16_e32 v6, v10, v6
	v_fmac_f16_e32 v16, 0xb8b4, v17
	v_fmac_f16_e32 v7, 0x38b4, v17
	v_sub_f16_e32 v10, v78, v71
	s_delay_alu instid0(VALU_DEP_3) | instskip(NEXT) | instid1(VALU_DEP_3)
	v_fmac_f16_e32 v16, 0x34f2, v2
	v_fmac_f16_e32 v7, 0x34f2, v2
	v_add_f16_e32 v2, v9, v5
	v_sub_f16_e32 v5, v15, v5
	s_delay_alu instid0(VALU_DEP_2) | instskip(SKIP_2) | instid1(VALU_DEP_2)
	v_fma_f16 v19, -0.5, v2, v18
	v_add_f16_e32 v2, v11, v15
	v_sub_f16_e32 v15, v99, v110
	v_fmac_f16_e32 v18, -0.5, v2
	v_sub_f16_e32 v2, v9, v11
	v_sub_f16_e32 v9, v11, v9
	;; [unrolled: 1-line block ×3, first 2 shown]
	s_delay_alu instid0(VALU_DEP_4)
	v_fmamk_f16 v69, v8, 0xbb9c, v18
	v_fmac_f16_e32 v18, 0x3b9c, v8
	v_add_f16_e32 v2, v2, v3
	v_sub_f16_e32 v3, v110, v99
	v_add_f16_e32 v5, v9, v5
	v_fmac_f16_e32 v69, 0x38b4, v13
	v_fmac_f16_e32 v18, 0xb8b4, v13
	v_sub_f16_e32 v9, v76, v70
	v_add_f16_e32 v11, v15, v11
	s_delay_alu instid0(VALU_DEP_4) | instskip(NEXT) | instid1(VALU_DEP_4)
	v_fmac_f16_e32 v69, 0x34f2, v2
	v_fmac_f16_e32 v18, 0x34f2, v2
	v_sub_f16_e32 v2, v113, v0
	v_add_f16_e32 v9, v9, v10
	v_add_f16_e32 v10, v110, v113
	s_delay_alu instid0(VALU_DEP_3) | instskip(SKIP_1) | instid1(VALU_DEP_3)
	v_add_f16_e32 v2, v3, v2
	v_add_f16_e32 v3, v99, v0
	v_fma_f16 v10, -0.5, v10, v94
	s_delay_alu instid0(VALU_DEP_2) | instskip(NEXT) | instid1(VALU_DEP_1)
	v_fma_f16 v3, -0.5, v3, v94
	v_fmamk_f16 v74, v72, 0x3b9c, v3
	v_fmac_f16_e32 v3, 0xbb9c, v72
	s_delay_alu instid0(VALU_DEP_2) | instskip(NEXT) | instid1(VALU_DEP_2)
	v_fmac_f16_e32 v74, 0xb8b4, v80
	v_fmac_f16_e32 v3, 0x38b4, v80
	s_delay_alu instid0(VALU_DEP_2) | instskip(NEXT) | instid1(VALU_DEP_2)
	v_fmac_f16_e32 v74, 0x34f2, v2
	v_fmac_f16_e32 v3, 0x34f2, v2
	v_add_f16_e32 v2, v70, v71
	s_delay_alu instid0(VALU_DEP_1) | instskip(SKIP_3) | instid1(VALU_DEP_4)
	v_fma_f16 v83, -0.5, v2, v82
	v_add_f16_e32 v2, v76, v78
	v_fmamk_f16 v78, v13, 0x3b9c, v19
	v_fmac_f16_e32 v19, 0xbb9c, v13
	v_fmamk_f16 v15, v88, 0x3b9c, v83
	s_delay_alu instid0(VALU_DEP_4)
	v_fmac_f16_e32 v82, -0.5, v2
	v_sub_f16_e32 v2, v70, v76
	v_fmamk_f16 v70, v80, 0xbb9c, v10
	v_fmac_f16_e32 v83, 0xbb9c, v88
	v_fmamk_f16 v76, v17, 0xbb9c, v4
	v_fmac_f16_e32 v4, 0x3b9c, v17
	v_add_f16_e32 v2, v2, v86
	v_sub_f16_e32 v86, v110, v113
	v_fmac_f16_e32 v70, 0xb8b4, v72
	v_fmac_f16_e32 v10, 0x3b9c, v80
	;; [unrolled: 1-line block ×4, first 2 shown]
	v_fmamk_f16 v87, v86, 0xbb9c, v82
	v_fmac_f16_e32 v82, 0x3b9c, v86
	v_fmac_f16_e32 v15, 0x38b4, v86
	;; [unrolled: 1-line block ×8, first 2 shown]
	v_pk_add_f16 v9, v94, v99
	v_fmac_f16_e32 v87, 0x34f2, v2
	v_fmac_f16_e32 v82, 0x34f2, v2
	v_mul_f16_e32 v71, 0xb8b4, v15
	v_fmac_f16_e32 v4, 0x38b4, v12
	v_fmac_f16_e32 v19, 0xb8b4, v8
	;; [unrolled: 1-line block ×3, first 2 shown]
	v_mul_f16_e32 v89, 0xbb9c, v82
	v_mul_f16_e32 v90, 0xb4f2, v82
	;; [unrolled: 1-line block ×4, first 2 shown]
	v_pk_add_f16 v9, v9, v110
	v_fmac_f16_e32 v89, 0xb4f2, v3
	v_fmac_f16_e32 v90, 0x3b9c, v3
	;; [unrolled: 1-line block ×5, first 2 shown]
	v_add_f16_e32 v2, v7, v89
	v_add_f16_e32 v3, v18, v90
	v_fmac_f16_e32 v76, 0x34f2, v6
	v_add_f16_e32 v74, v69, v87
	v_fmac_f16_e32 v78, 0x34f2, v5
	v_fmac_f16_e32 v4, 0x34f2, v6
	v_pack_b32_f16 v3, v2, v3
	v_add_f16_e32 v2, v16, v82
	v_fmac_f16_e32 v19, 0x34f2, v5
	v_fmac_f16_e32 v10, 0x34f2, v11
	v_mul_f16_e32 v5, 0xb8b4, v83
	v_mul_f16_e32 v6, 0xba79, v83
	v_pack_b32_f16 v2, v2, v74
	v_mul_f16_e32 v74, 0x38b4, v70
	v_pk_add_f16 v9, v9, v113
	v_add_f16_e32 v13, v76, v71
	v_fmac_f16_e32 v5, 0xba79, v10
	v_fmac_f16_e32 v6, 0x38b4, v10
	;; [unrolled: 1-line block ×3, first 2 shown]
	v_sub_f16_e32 v15, v16, v82
	v_sub_f16_e32 v16, v69, v87
	v_pk_add_f16 v0, v9, v0
	v_sub_f16_e32 v9, v81, v79
	v_add_f16_e32 v8, v78, v74
	v_add_f16_e32 v11, v79, v73
	v_pack_b32_f16 v70, v15, v16
	v_sub_f16_e32 v15, v76, v71
	v_sub_f16_e32 v16, v78, v74
	v_pack_b32_f16 v72, v13, v8
	v_pk_add_f16 v71, v14, v0
	v_pk_add_f16 v83, v14, v0 neg_lo:[0,1] neg_hi:[0,1]
	v_add_f16_e32 v0, v4, v5
	v_add_f16_e32 v8, v19, v6
	v_pack_b32_f16 v69, v15, v16
	v_lshrrev_b32_e32 v10, 16, v79
	v_lshrrev_b32_e32 v14, 16, v73
	;; [unrolled: 1-line block ×3, first 2 shown]
	v_pack_b32_f16 v82, v0, v8
	ds_store_2addr_b64 v165, v[71:72], v[2:3] offset1:1
	ds_store_2addr_b64 v165, v[82:83], v[69:70] offset0:2 offset1:3
	v_sub_f16_e32 v0, v7, v89
	v_sub_f16_e32 v2, v4, v5
	;; [unrolled: 1-line block ×5, first 2 shown]
	v_lshrrev_b32_e32 v7, 16, v81
	v_sub_f16_e32 v15, v10, v14
	v_pack_b32_f16 v3, v2, v3
	v_pack_b32_f16 v2, v0, v4
	v_pk_add_f16 v0, v77, v79
	v_sub_f16_e32 v6, v81, v75
	v_sub_f16_e32 v12, v79, v73
	;; [unrolled: 1-line block ×3, first 2 shown]
	ds_store_b64 v165, v[2:3] offset:32
	v_pk_add_f16 v0, v0, v81
	v_lshrrev_b32_e32 v3, 16, v75
	v_add_f16_e32 v2, v81, v75
	v_lshrrev_b32_e32 v69, 16, v114
	v_sub_f16_e32 v71, v114, v1
	v_pk_add_f16 v0, v0, v75
	v_sub_f16_e32 v75, v111, v100
	v_fma_f16 v16, -0.5, v2, v77
	v_sub_f16_e32 v2, v3, v14
	v_sub_f16_e32 v8, v79, v81
	v_pk_add_f16 v13, v0, v73
	v_add_f16_e32 v0, v9, v5
	v_fma_f16 v5, -0.5, v11, v77
	v_sub_f16_e32 v9, v7, v3
	v_lshrrev_b32_e32 v73, 16, v111
	v_add_f16_e32 v77, v100, v1
	v_sub_f16_e32 v70, v1, v114
	v_lshrrev_b32_e32 v76, 16, v100
	v_fmamk_f16 v11, v9, 0x3b9c, v5
	v_fmac_f16_e32 v5, 0xbb9c, v9
	v_sub_f16_e32 v78, v100, v1
	v_lshrrev_b32_e32 v80, 16, v1
	v_add_f16_e32 v81, v73, v69
	v_fmac_f16_e32 v11, 0xb8b4, v15
	v_fmac_f16_e32 v5, 0x38b4, v15
	v_sub_f16_e32 v72, v111, v114
	v_add_f16_e32 v82, v76, v80
	v_sub_f16_e32 v83, v69, v80
	v_fmac_f16_e32 v11, 0x34f2, v0
	v_fmac_f16_e32 v5, 0x34f2, v0
	v_add_f16_e32 v0, v7, v3
	v_add_f16_e32 v19, v111, v114
	v_sub_f16_e32 v3, v14, v3
	v_sub_f16_e32 v74, v100, v111
	v_add_f16_e32 v4, v8, v4
	v_fma_f16 v18, -0.5, v0, v17
	v_add_f16_e32 v0, v10, v14
	v_fma_f16 v19, -0.5, v19, v95
	v_sub_f16_e32 v14, v80, v69
	v_add_f16_e32 v8, v74, v70
	v_fmamk_f16 v70, v12, 0x3b9c, v18
	v_fmac_f16_e32 v17, -0.5, v0
	v_sub_f16_e32 v0, v7, v10
	v_sub_f16_e32 v7, v10, v7
	;; [unrolled: 1-line block ×3, first 2 shown]
	v_fmac_f16_e32 v18, 0xbb9c, v12
	v_fmac_f16_e32 v70, 0x38b4, v6
	v_add_f16_e32 v0, v0, v2
	v_fmamk_f16 v2, v6, 0xbb9c, v17
	v_fmac_f16_e32 v17, 0x3b9c, v6
	v_add_f16_e32 v7, v7, v3
	v_add_f16_e32 v10, v10, v14
	v_fmac_f16_e32 v18, 0xb8b4, v6
	v_fmac_f16_e32 v2, 0x38b4, v12
	;; [unrolled: 1-line block ×4, first 2 shown]
	v_lshrrev_b32_e32 v12, 16, v59
	v_fmac_f16_e32 v18, 0x34f2, v7
	v_fmac_f16_e32 v2, 0x34f2, v0
	;; [unrolled: 1-line block ×3, first 2 shown]
	v_pk_add_f16 v0, v95, v100
	v_mov_b32_e32 v110, v85
	s_delay_alu instid0(VALU_DEP_2) | instskip(NEXT) | instid1(VALU_DEP_1)
	v_pk_add_f16 v0, v0, v111
	v_pk_add_f16 v0, v0, v114
	s_delay_alu instid0(VALU_DEP_1) | instskip(SKIP_4) | instid1(VALU_DEP_2)
	v_pk_add_f16 v79, v0, v1
	v_add_f16_e32 v0, v75, v71
	v_fma_f16 v1, -0.5, v77, v95
	v_sub_f16_e32 v71, v73, v69
	v_sub_f16_e32 v77, v76, v80
	v_fmamk_f16 v75, v71, 0x3b9c, v1
	v_fmac_f16_e32 v1, 0xbb9c, v71
	s_delay_alu instid0(VALU_DEP_3) | instskip(SKIP_1) | instid1(VALU_DEP_4)
	v_fmamk_f16 v14, v77, 0xbb9c, v19
	v_fmac_f16_e32 v19, 0x3b9c, v77
	v_fmac_f16_e32 v75, 0xb8b4, v77
	s_delay_alu instid0(VALU_DEP_4) | instskip(NEXT) | instid1(VALU_DEP_4)
	v_fmac_f16_e32 v1, 0x38b4, v77
	v_fmac_f16_e32 v14, 0xb8b4, v71
	s_delay_alu instid0(VALU_DEP_4) | instskip(NEXT) | instid1(VALU_DEP_4)
	v_fmac_f16_e32 v19, 0x38b4, v71
	v_fmac_f16_e32 v75, 0x34f2, v0
	s_delay_alu instid0(VALU_DEP_4) | instskip(SKIP_3) | instid1(VALU_DEP_3)
	v_fmac_f16_e32 v1, 0x34f2, v0
	v_lshrrev_b32_e32 v0, 16, v95
	v_fmac_f16_e32 v14, 0x34f2, v8
	v_fmac_f16_e32 v19, 0x34f2, v8
	v_fma_f16 v81, -0.5, v81, v0
	v_fmac_f16_e32 v0, -0.5, v82
	v_sub_f16_e32 v82, v73, v76
	s_delay_alu instid0(VALU_DEP_3) | instskip(SKIP_1) | instid1(VALU_DEP_3)
	v_fmamk_f16 v3, v78, 0x3b9c, v81
	v_fmac_f16_e32 v81, 0xbb9c, v78
	v_add_f16_e32 v82, v82, v83
	v_fmamk_f16 v83, v72, 0xbb9c, v0
	v_fmac_f16_e32 v0, 0x3b9c, v72
	v_fmac_f16_e32 v3, 0x38b4, v72
	v_fmac_f16_e32 v81, 0xb8b4, v72
	v_pk_add_f16 v72, v13, v79 neg_lo:[0,1] neg_hi:[0,1]
	v_fmac_f16_e32 v83, 0x38b4, v78
	v_fmac_f16_e32 v0, 0xb8b4, v78
	v_fmac_f16_e32 v3, 0x34f2, v10
	v_fmac_f16_e32 v81, 0x34f2, v10
	v_lshrrev_b32_e32 v10, 16, v66
	v_fmac_f16_e32 v83, 0x34f2, v82
	v_fmac_f16_e32 v0, 0x34f2, v82
	v_mul_f16_e32 v69, 0xb8b4, v3
	v_mul_f16_e32 v7, 0xba79, v81
	s_delay_alu instid0(VALU_DEP_4) | instskip(NEXT) | instid1(VALU_DEP_4)
	v_mul_f16_e32 v87, 0xbb9c, v83
	v_mul_f16_e32 v82, 0xbb9c, v0
	;; [unrolled: 1-line block ×3, first 2 shown]
	v_fmac_f16_e32 v69, 0x3a79, v14
	v_mul_f16_e32 v14, 0x38b4, v14
	v_fmac_f16_e32 v87, 0x34f2, v75
	v_fmac_f16_e32 v82, 0xb4f2, v1
	;; [unrolled: 1-line block ×3, first 2 shown]
	v_mul_f16_e32 v83, 0x34f2, v83
	v_fmac_f16_e32 v14, 0x3a79, v3
	v_sub_f16_e32 v3, v11, v87
	v_add_f16_e32 v0, v5, v82
	v_add_f16_e32 v1, v17, v86
	v_fmac_f16_e32 v83, 0x3b9c, v75
	v_add_f16_e32 v6, v70, v14
	v_fmac_f16_e32 v7, 0x38b4, v19
	v_sub_f16_e32 v73, v70, v14
	v_pack_b32_f16 v1, v0, v1
	v_add_f16_e32 v0, v11, v87
	v_fmamk_f16 v11, v15, 0xbb9c, v16
	v_fmac_f16_e32 v16, 0x3b9c, v15
	v_add_f16_e32 v75, v2, v83
	v_sub_f16_e32 v2, v2, v83
	v_add_f16_e32 v8, v18, v7
	v_fmac_f16_e32 v11, 0xb8b4, v9
	v_fmac_f16_e32 v16, 0x38b4, v9
	v_pack_b32_f16 v0, v0, v75
	v_pack_b32_f16 v3, v3, v2
	s_delay_alu instid0(VALU_DEP_4) | instskip(NEXT) | instid1(VALU_DEP_4)
	v_fmac_f16_e32 v11, 0x34f2, v4
	v_fmac_f16_e32 v16, 0x34f2, v4
	v_mul_f16_e32 v4, 0xb8b4, v81
	s_delay_alu instid0(VALU_DEP_3) | instskip(SKIP_1) | instid1(VALU_DEP_3)
	v_sub_f16_e32 v2, v11, v69
	v_add_f16_e32 v11, v11, v69
	v_fmac_f16_e32 v4, 0xba79, v19
	v_pk_add_f16 v69, v13, v79
	s_delay_alu instid0(VALU_DEP_4) | instskip(NEXT) | instid1(VALU_DEP_4)
	v_pack_b32_f16 v2, v2, v73
	v_pack_b32_f16 v70, v11, v6
	s_delay_alu instid0(VALU_DEP_4) | instskip(NEXT) | instid1(VALU_DEP_1)
	v_add_f16_e32 v6, v16, v4
	v_pack_b32_f16 v71, v6, v8
	ds_store_2addr_b64 v164, v[69:70], v[0:1] offset1:1
	ds_store_2addr_b64 v164, v[71:72], v[2:3] offset0:2 offset1:3
	v_sub_f16_e32 v0, v5, v82
	v_sub_f16_e32 v1, v16, v4
	;; [unrolled: 1-line block ×4, first 2 shown]
	v_lshrrev_b32_e32 v4, 16, v63
	v_lshrrev_b32_e32 v8, 16, v64
	;; [unrolled: 1-line block ×3, first 2 shown]
	v_pack_b32_f16 v1, v1, v2
	v_pack_b32_f16 v0, v0, v3
	v_lshrrev_b32_e32 v18, 16, v56
	ds_store_b64 v164, v[0:1] offset:32
	global_wb scope:SCOPE_SE
	s_wait_dscnt 0x0
	s_barrier_signal -1
	s_barrier_wait -1
	global_inv scope:SCOPE_SE
	ds_load_2addr_b32 v[0:1], v146 offset0:104 offset1:204
	s_wait_dscnt 0x0
	v_lshrrev_b32_e32 v2, 16, v0
	v_mul_f16_e32 v3, v4, v0
	s_delay_alu instid0(VALU_DEP_2) | instskip(NEXT) | instid1(VALU_DEP_2)
	v_mul_f16_e32 v4, v4, v2
	v_fma_f16 v5, v63, v2, -v3
	ds_load_2addr_b32 v[2:3], v108 offset0:80 offset1:180
	v_fmac_f16_e32 v4, v63, v0
	v_lshrrev_b32_e32 v0, 16, v1
	v_lshrrev_b32_e32 v63, 16, v68
	s_wait_dscnt 0x0
	v_lshrrev_b32_e32 v6, 16, v2
	v_mul_f16_e32 v7, v8, v2
	s_delay_alu instid0(VALU_DEP_2) | instskip(NEXT) | instid1(VALU_DEP_2)
	v_mul_f16_e32 v8, v8, v6
	v_fma_f16 v6, v64, v6, -v7
	s_delay_alu instid0(VALU_DEP_2) | instskip(SKIP_1) | instid1(VALU_DEP_1)
	v_fmac_f16_e32 v8, v64, v2
	v_lshrrev_b32_e32 v2, 16, v65
	v_mul_f16_e32 v7, v2, v0
	s_delay_alu instid0(VALU_DEP_1) | instskip(SKIP_2) | instid1(VALU_DEP_2)
	v_fmac_f16_e32 v7, v65, v1
	v_mul_f16_e32 v1, v2, v1
	v_lshrrev_b32_e32 v2, 16, v3
	v_fma_f16 v11, v65, v0, -v1
	ds_load_2addr_b32 v[0:1], v84 offset0:48 offset1:148
	v_mul_f16_e32 v9, v10, v2
	v_mul_f16_e32 v10, v10, v3
	v_lshrrev_b32_e32 v65, 16, v62
	s_delay_alu instid0(VALU_DEP_3) | instskip(NEXT) | instid1(VALU_DEP_3)
	v_fmac_f16_e32 v9, v66, v3
	v_fma_f16 v10, v66, v2, -v10
	s_wait_dscnt 0x0
	v_lshrrev_b32_e32 v2, 16, v0
	v_mul_f16_e32 v3, v12, v0
	s_delay_alu instid0(VALU_DEP_2) | instskip(NEXT) | instid1(VALU_DEP_2)
	v_mul_f16_e32 v12, v12, v2
	v_fma_f16 v13, v59, v2, -v3
	ds_load_2addr_b32 v[2:3], v137 offset0:152 offset1:252
	v_fmac_f16_e32 v12, v59, v0
	v_lshrrev_b32_e32 v0, 16, v1
	s_wait_dscnt 0x0
	v_lshrrev_b32_e32 v14, 16, v2
	v_mul_f16_e32 v15, v16, v2
	s_delay_alu instid0(VALU_DEP_2) | instskip(NEXT) | instid1(VALU_DEP_2)
	v_mul_f16_e32 v16, v16, v14
	v_fma_f16 v14, v60, v14, -v15
	s_delay_alu instid0(VALU_DEP_2) | instskip(SKIP_1) | instid1(VALU_DEP_1)
	v_fmac_f16_e32 v16, v60, v2
	v_lshrrev_b32_e32 v2, 16, v55
	v_mul_f16_e32 v15, v2, v0
	s_delay_alu instid0(VALU_DEP_1) | instskip(SKIP_2) | instid1(VALU_DEP_2)
	v_fmac_f16_e32 v15, v55, v1
	v_mul_f16_e32 v1, v2, v1
	v_lshrrev_b32_e32 v2, 16, v3
	v_fma_f16 v19, v55, v0, -v1
	ds_load_2addr_b32 v[0:1], v148 offset0:120 offset1:220
	v_mul_f16_e32 v17, v18, v2
	v_mul_f16_e32 v18, v18, v3
	v_lshrrev_b32_e32 v55, 16, v67
	s_delay_alu instid0(VALU_DEP_3) | instskip(NEXT) | instid1(VALU_DEP_3)
	v_fmac_f16_e32 v17, v56, v3
	v_fma_f16 v18, v56, v2, -v18
	s_wait_dscnt 0x0
	v_lshrrev_b32_e32 v2, 16, v0
	v_mul_f16_e32 v3, v55, v0
	s_delay_alu instid0(VALU_DEP_2) | instskip(NEXT) | instid1(VALU_DEP_2)
	v_mul_f16_e32 v55, v55, v2
	v_fma_f16 v56, v67, v2, -v3
	ds_load_2addr_b32 v[2:3], v117 offset0:96 offset1:196
	v_fmac_f16_e32 v55, v67, v0
	v_lshrrev_b32_e32 v0, 16, v1
	s_wait_dscnt 0x0
	v_lshrrev_b32_e32 v59, 16, v2
	v_mul_f16_e32 v60, v63, v2
	s_delay_alu instid0(VALU_DEP_2) | instskip(NEXT) | instid1(VALU_DEP_2)
	v_mul_f16_e32 v63, v63, v59
	v_fma_f16 v59, v68, v59, -v60
	s_delay_alu instid0(VALU_DEP_2) | instskip(SKIP_1) | instid1(VALU_DEP_1)
	v_fmac_f16_e32 v63, v68, v2
	v_lshrrev_b32_e32 v2, 16, v61
	v_mul_f16_e32 v60, v2, v0
	s_delay_alu instid0(VALU_DEP_1) | instskip(SKIP_2) | instid1(VALU_DEP_2)
	v_fmac_f16_e32 v60, v61, v1
	v_mul_f16_e32 v1, v2, v1
	v_lshrrev_b32_e32 v2, 16, v3
	v_fma_f16 v61, v61, v0, -v1
	ds_load_2addr_b32 v[0:1], v97 offset0:64 offset1:164
	v_mul_f16_e32 v64, v65, v2
	v_mul_f16_e32 v65, v65, v3
	s_delay_alu instid0(VALU_DEP_2) | instskip(NEXT) | instid1(VALU_DEP_2)
	v_fmac_f16_e32 v64, v62, v3
	v_fma_f16 v62, v62, v2, -v65
	v_lshrrev_b32_e32 v65, 16, v57
	s_wait_dscnt 0x0
	v_lshrrev_b32_e32 v2, 16, v0
	s_delay_alu instid0(VALU_DEP_2) | instskip(NEXT) | instid1(VALU_DEP_2)
	v_mul_f16_e32 v3, v65, v0
	v_mul_f16_e32 v65, v65, v2
	s_delay_alu instid0(VALU_DEP_2) | instskip(SKIP_3) | instid1(VALU_DEP_1)
	v_fma_f16 v66, v57, v2, -v3
	ds_load_2addr_b32 v[2:3], v159 offset0:40 offset1:140
	v_fmac_f16_e32 v65, v57, v0
	v_lshrrev_b32_e32 v0, 16, v1
	v_mul_f16_e64 v57, v204, v0
	s_delay_alu instid0(VALU_DEP_1) | instskip(SKIP_1) | instid1(VALU_DEP_1)
	v_fmac_f16_e32 v57, v53, v1
	v_mul_f16_e64 v1, v204, v1
	v_fma_f16 v70, v53, v0, -v1
	ds_load_2addr_b32 v[0:1], v144 offset0:8 offset1:108
	s_wait_dscnt 0x1
	v_lshrrev_b32_e32 v67, 16, v2
	v_mul_f16_e64 v68, v200, v2
	s_delay_alu instid0(VALU_DEP_2) | instskip(NEXT) | instid1(VALU_DEP_2)
	v_mul_f16_e64 v69, v200, v67
	v_fma_f16 v67, v58, v67, -v68
	v_mul_f16_e64 v68, v186, v3
	s_delay_alu instid0(VALU_DEP_3) | instskip(SKIP_1) | instid1(VALU_DEP_1)
	v_fmac_f16_e32 v69, v58, v2
	v_lshrrev_b32_e32 v2, 16, v3
	v_mul_f16_e64 v58, v186, v2
	s_delay_alu instid0(VALU_DEP_4) | instskip(SKIP_2) | instid1(VALU_DEP_3)
	v_fma_f16 v68, v54, v2, -v68
	s_wait_dscnt 0x0
	v_lshrrev_b32_e32 v2, 16, v0
	v_fmac_f16_e32 v58, v54, v3
	v_mul_f16_e64 v3, v153, v0
	s_delay_alu instid0(VALU_DEP_3) | instskip(NEXT) | instid1(VALU_DEP_2)
	v_mul_f16_e64 v71, v153, v2
	v_fma_f16 v72, v51, v2, -v3
	ds_load_2addr_b32 v[2:3], v102 offset0:112 offset1:212
	v_fmac_f16_e32 v71, v51, v0
	v_lshrrev_b32_e32 v0, 16, v1
	s_delay_alu instid0(VALU_DEP_1) | instskip(NEXT) | instid1(VALU_DEP_1)
	v_mul_f16_e64 v75, v141, v0
	v_fmac_f16_e32 v75, v49, v1
	v_mul_f16_e64 v1, v141, v1
	s_delay_alu instid0(VALU_DEP_1)
	v_fma_f16 v77, v49, v0, -v1
	ds_load_2addr_b32 v[0:1], v147 offset1:100
	s_wait_dscnt 0x1
	v_lshrrev_b32_e32 v53, 16, v2
	v_mul_f16_e64 v54, v156, v2
	v_mul_f16_e64 v51, v143, v3
	s_delay_alu instid0(VALU_DEP_3) | instskip(NEXT) | instid1(VALU_DEP_3)
	v_mul_f16_e64 v73, v156, v53
	v_fma_f16 v74, v52, v53, -v54
	s_delay_alu instid0(VALU_DEP_2) | instskip(SKIP_1) | instid1(VALU_DEP_1)
	v_fmac_f16_e32 v73, v52, v2
	v_lshrrev_b32_e32 v2, 16, v3
	v_mul_f16_e64 v76, v143, v2
	v_fma_f16 v78, v50, v2, -v51
	s_wait_dscnt 0x0
	v_lshrrev_b32_e32 v79, 16, v0
	s_delay_alu instid0(VALU_DEP_3) | instskip(SKIP_1) | instid1(VALU_DEP_3)
	v_fmac_f16_e32 v76, v50, v3
	v_add_f16_e32 v3, v5, v6
	v_add_f16_e32 v2, v79, v5
	v_sub_f16_e32 v5, v5, v6
	s_delay_alu instid0(VALU_DEP_3) | instskip(SKIP_1) | instid1(VALU_DEP_4)
	v_fmac_f16_e32 v79, -0.5, v3
	v_add_f16_e32 v3, v0, v4
	v_add_f16_e32 v2, v2, v6
	;; [unrolled: 1-line block ×3, first 2 shown]
	v_sub_f16_e32 v4, v4, v8
	s_delay_alu instid0(VALU_DEP_4) | instskip(NEXT) | instid1(VALU_DEP_3)
	v_add_f16_e32 v3, v3, v8
	v_fma_f16 v0, -0.5, v6, v0
	s_delay_alu instid0(VALU_DEP_2) | instskip(NEXT) | instid1(VALU_DEP_4)
	v_pack_b32_f16 v8, v3, v2
	v_fmamk_f16 v3, v4, 0x3aee, v79
	s_delay_alu instid0(VALU_DEP_3)
	v_fmamk_f16 v2, v5, 0xbaee, v0
	v_fmac_f16_e32 v0, 0x3aee, v5
	v_fmac_f16_e32 v79, 0xbaee, v4
	v_lshrrev_b32_e32 v4, 16, v1
	v_add_f16_e32 v5, v1, v7
	v_pack_b32_f16 v6, v2, v3
	ds_load_2addr_b32 v[2:3], v160 offset0:72 offset1:172
	ds_load_2addr_b32 v[49:50], v127 offset0:144 offset1:244
	;; [unrolled: 1-line block ×4, first 2 shown]
	global_wb scope:SCOPE_SE
	s_wait_dscnt 0x0
	s_barrier_signal -1
	s_barrier_wait -1
	global_inv scope:SCOPE_SE
	scratch_load_b32 v80, off, off offset:248 th:TH_LOAD_LU ; 4-byte Folded Reload
	v_pack_b32_f16 v0, v0, v79
	s_wait_loadcnt 0x0
	ds_store_b32 v80, v0 offset:80
	v_add_f16_e32 v0, v7, v9
	ds_store_2addr_b32 v80, v8, v6 offset1:10
	v_add_f16_e32 v8, v4, v11
	v_fmac_f16_e32 v1, -0.5, v0
	v_sub_f16_e32 v0, v11, v10
	s_delay_alu instid0(VALU_DEP_1) | instskip(SKIP_2) | instid1(VALU_DEP_1)
	v_fmamk_f16 v6, v0, 0xbaee, v1
	v_fmac_f16_e32 v1, 0x3aee, v0
	v_add_f16_e32 v0, v11, v10
	v_fmac_f16_e32 v4, -0.5, v0
	v_sub_f16_e32 v0, v7, v9
	s_delay_alu instid0(VALU_DEP_1) | instskip(SKIP_1) | instid1(VALU_DEP_1)
	v_fmamk_f16 v7, v0, 0x3aee, v4
	v_fmac_f16_e32 v4, 0xbaee, v0
	v_pack_b32_f16 v0, v1, v4
	v_add_f16_e32 v1, v5, v9
	scratch_load_b32 v5, off, off offset:252 th:TH_LOAD_LU ; 4-byte Folded Reload
	v_add_f16_e32 v4, v8, v10
	s_delay_alu instid0(VALU_DEP_1)
	v_pack_b32_f16 v1, v1, v4
	v_pack_b32_f16 v4, v6, v7
	s_wait_loadcnt 0x0
	ds_store_2addr_b32 v5, v1, v4 offset1:10
	ds_store_b32 v5, v0 offset:80
	v_lshrrev_b32_e32 v0, 16, v2
	v_add_f16_e32 v4, v13, v14
	v_add_f16_e32 v6, v12, v16
	v_sub_f16_e32 v5, v13, v14
	v_sub_f16_e32 v7, v12, v16
	v_add_f16_e32 v1, v0, v13
	v_fmac_f16_e32 v0, -0.5, v4
	v_add_f16_e32 v4, v2, v12
	v_fma_f16 v2, -0.5, v6, v2
	s_delay_alu instid0(VALU_DEP_4) | instskip(NEXT) | instid1(VALU_DEP_4)
	v_add_f16_e32 v1, v1, v14
	v_fmamk_f16 v6, v7, 0x3aee, v0
	s_delay_alu instid0(VALU_DEP_4) | instskip(SKIP_1) | instid1(VALU_DEP_2)
	v_add_f16_e32 v4, v4, v16
	v_fmac_f16_e32 v0, 0xbaee, v7
	v_pack_b32_f16 v1, v4, v1
	v_fmamk_f16 v4, v5, 0xbaee, v2
	v_fmac_f16_e32 v2, 0x3aee, v5
	s_delay_alu instid0(VALU_DEP_2)
	v_pack_b32_f16 v4, v4, v6
	scratch_load_b32 v6, off, off offset:256 th:TH_LOAD_LU ; 4-byte Folded Reload
	v_pack_b32_f16 v0, v2, v0
	v_add_f16_e32 v2, v3, v15
	s_wait_loadcnt 0x0
	ds_store_b32 v6, v0 offset:80
	v_add_f16_e32 v0, v15, v17
	ds_store_2addr_b32 v6, v1, v4 offset1:10
	v_lshrrev_b32_e32 v1, 16, v3
	v_fmac_f16_e32 v3, -0.5, v0
	v_sub_f16_e32 v0, v19, v18
	s_delay_alu instid0(VALU_DEP_3) | instskip(NEXT) | instid1(VALU_DEP_2)
	v_add_f16_e32 v5, v1, v19
	v_fmamk_f16 v4, v0, 0xbaee, v3
	v_fmac_f16_e32 v3, 0x3aee, v0
	v_add_f16_e32 v0, v19, v18
	s_delay_alu instid0(VALU_DEP_1) | instskip(SKIP_1) | instid1(VALU_DEP_1)
	v_fmac_f16_e32 v1, -0.5, v0
	v_sub_f16_e32 v0, v15, v17
	v_fmamk_f16 v6, v0, 0x3aee, v1
	v_fmac_f16_e32 v1, 0xbaee, v0
	s_delay_alu instid0(VALU_DEP_1) | instskip(SKIP_4) | instid1(VALU_DEP_2)
	v_pack_b32_f16 v0, v3, v1
	scratch_load_b32 v3, off, off offset:260 th:TH_LOAD_LU ; 4-byte Folded Reload
	v_add_f16_e32 v1, v2, v17
	v_add_f16_e32 v2, v5, v18
	v_sub_f16_e32 v5, v55, v63
	v_pack_b32_f16 v1, v1, v2
	v_pack_b32_f16 v2, v4, v6
	s_wait_loadcnt 0x0
	ds_store_2addr_b32 v3, v1, v2 offset1:10
	ds_store_b32 v3, v0 offset:80
	v_lshrrev_b32_e32 v0, 16, v49
	v_add_f16_e32 v2, v56, v59
	v_add_f16_e32 v4, v55, v63
	v_sub_f16_e32 v3, v56, v59
	s_delay_alu instid0(VALU_DEP_4) | instskip(NEXT) | instid1(VALU_DEP_4)
	v_add_f16_e32 v1, v0, v56
	v_fmac_f16_e32 v0, -0.5, v2
	v_add_f16_e32 v2, v49, v55
	s_delay_alu instid0(VALU_DEP_3) | instskip(NEXT) | instid1(VALU_DEP_3)
	v_add_f16_e32 v1, v1, v59
	v_fmamk_f16 v6, v5, 0x3aee, v0
	s_delay_alu instid0(VALU_DEP_3) | instskip(SKIP_1) | instid1(VALU_DEP_2)
	v_add_f16_e32 v2, v2, v63
	v_fmac_f16_e32 v0, 0xbaee, v5
	v_pack_b32_f16 v1, v2, v1
	v_fma_f16 v2, -0.5, v4, v49
	s_delay_alu instid0(VALU_DEP_1) | instskip(SKIP_1) | instid1(VALU_DEP_2)
	v_fmamk_f16 v4, v3, 0xbaee, v2
	v_fmac_f16_e32 v2, 0x3aee, v3
	v_pack_b32_f16 v4, v4, v6
	scratch_load_b32 v6, off, off offset:264 th:TH_LOAD_LU ; 4-byte Folded Reload
	v_pack_b32_f16 v0, v2, v0
	v_add_f16_e32 v2, v50, v60
	s_wait_loadcnt 0x0
	ds_store_b32 v6, v0 offset:80
	v_add_f16_e32 v0, v60, v64
	ds_store_2addr_b32 v6, v1, v4 offset1:10
	v_lshrrev_b32_e32 v1, 16, v50
	v_fmac_f16_e32 v50, -0.5, v0
	v_sub_f16_e32 v0, v61, v62
	s_delay_alu instid0(VALU_DEP_3) | instskip(NEXT) | instid1(VALU_DEP_2)
	v_add_f16_e32 v4, v1, v61
	v_fmamk_f16 v3, v0, 0xbaee, v50
	v_fmac_f16_e32 v50, 0x3aee, v0
	v_add_f16_e32 v0, v61, v62
	s_delay_alu instid0(VALU_DEP_1) | instskip(SKIP_1) | instid1(VALU_DEP_1)
	v_fmac_f16_e32 v1, -0.5, v0
	v_sub_f16_e32 v0, v60, v64
	v_fmamk_f16 v5, v0, 0x3aee, v1
	v_fmac_f16_e32 v1, 0xbaee, v0
	s_delay_alu instid0(VALU_DEP_1) | instskip(SKIP_3) | instid1(VALU_DEP_2)
	v_pack_b32_f16 v0, v50, v1
	v_add_f16_e32 v1, v2, v64
	v_add_f16_e32 v2, v4, v62
	;; [unrolled: 1-line block ×3, first 2 shown]
	v_pack_b32_f16 v1, v1, v2
	v_pack_b32_f16 v2, v3, v5
	scratch_load_b32 v3, off, off offset:268 th:TH_LOAD_LU ; 4-byte Folded Reload
	s_wait_loadcnt 0x0
	ds_store_2addr_b32 v3, v1, v2 offset1:10
	ds_store_b32 v3, v0 offset:80
	v_lshrrev_b32_e32 v0, 16, v51
	v_add_f16_e32 v2, v66, v67
	v_sub_f16_e32 v3, v66, v67
	v_sub_f16_e32 v5, v65, v69
	s_delay_alu instid0(VALU_DEP_4) | instskip(NEXT) | instid1(VALU_DEP_4)
	v_add_f16_e32 v1, v0, v66
	v_fmac_f16_e32 v0, -0.5, v2
	v_add_f16_e32 v2, v51, v65
	s_delay_alu instid0(VALU_DEP_3) | instskip(NEXT) | instid1(VALU_DEP_3)
	v_add_f16_e32 v1, v1, v67
	v_fmamk_f16 v6, v5, 0x3aee, v0
	s_delay_alu instid0(VALU_DEP_3) | instskip(SKIP_1) | instid1(VALU_DEP_2)
	v_add_f16_e32 v2, v2, v69
	v_fmac_f16_e32 v0, 0xbaee, v5
	v_pack_b32_f16 v1, v2, v1
	v_fma_f16 v2, -0.5, v4, v51
	s_delay_alu instid0(VALU_DEP_1) | instskip(SKIP_1) | instid1(VALU_DEP_2)
	v_fmamk_f16 v4, v3, 0xbaee, v2
	v_fmac_f16_e32 v2, 0x3aee, v3
	v_pack_b32_f16 v4, v4, v6
	scratch_load_b32 v6, off, off offset:272 th:TH_LOAD_LU ; 4-byte Folded Reload
	v_pack_b32_f16 v0, v2, v0
	v_add_f16_e32 v2, v52, v57
	s_wait_loadcnt 0x0
	ds_store_b32 v6, v0 offset:80
	v_add_f16_e32 v0, v57, v58
	ds_store_2addr_b32 v6, v1, v4 offset1:10
	v_lshrrev_b32_e32 v1, 16, v52
	v_fmac_f16_e32 v52, -0.5, v0
	v_sub_f16_e32 v0, v70, v68
	s_delay_alu instid0(VALU_DEP_3) | instskip(NEXT) | instid1(VALU_DEP_2)
	v_add_f16_e32 v4, v1, v70
	v_fmamk_f16 v3, v0, 0xbaee, v52
	v_fmac_f16_e32 v52, 0x3aee, v0
	v_add_f16_e32 v0, v70, v68
	s_delay_alu instid0(VALU_DEP_1) | instskip(SKIP_1) | instid1(VALU_DEP_1)
	v_fmac_f16_e32 v1, -0.5, v0
	v_sub_f16_e32 v0, v57, v58
	v_fmamk_f16 v5, v0, 0x3aee, v1
	v_fmac_f16_e32 v1, 0xbaee, v0
	s_delay_alu instid0(VALU_DEP_1) | instskip(SKIP_3) | instid1(VALU_DEP_2)
	v_pack_b32_f16 v0, v52, v1
	v_add_f16_e32 v1, v2, v58
	v_add_f16_e32 v2, v4, v68
	;; [unrolled: 1-line block ×3, first 2 shown]
	v_pack_b32_f16 v1, v1, v2
	v_pack_b32_f16 v2, v3, v5
	scratch_load_b32 v3, off, off offset:276 th:TH_LOAD_LU ; 4-byte Folded Reload
	s_wait_loadcnt 0x0
	ds_store_2addr_b32 v3, v1, v2 offset1:10
	ds_store_b32 v3, v0 offset:80
	v_lshrrev_b32_e32 v0, 16, v53
	v_add_f16_e32 v2, v72, v74
	v_sub_f16_e32 v3, v72, v74
	v_sub_f16_e32 v5, v71, v73
	s_delay_alu instid0(VALU_DEP_4) | instskip(NEXT) | instid1(VALU_DEP_4)
	v_add_f16_e32 v1, v0, v72
	v_fmac_f16_e32 v0, -0.5, v2
	v_add_f16_e32 v2, v53, v71
	s_delay_alu instid0(VALU_DEP_3) | instskip(NEXT) | instid1(VALU_DEP_3)
	v_add_f16_e32 v1, v1, v74
	v_fmamk_f16 v6, v5, 0x3aee, v0
	s_delay_alu instid0(VALU_DEP_3) | instskip(SKIP_1) | instid1(VALU_DEP_2)
	v_add_f16_e32 v2, v2, v73
	v_fmac_f16_e32 v0, 0xbaee, v5
	v_pack_b32_f16 v1, v2, v1
	v_fma_f16 v2, -0.5, v4, v53
	s_delay_alu instid0(VALU_DEP_1) | instskip(SKIP_1) | instid1(VALU_DEP_2)
	v_fmamk_f16 v4, v3, 0xbaee, v2
	v_fmac_f16_e32 v2, 0x3aee, v3
	v_pack_b32_f16 v4, v4, v6
	scratch_load_b32 v6, off, off offset:280 th:TH_LOAD_LU ; 4-byte Folded Reload
	v_pack_b32_f16 v0, v2, v0
	v_add_f16_e32 v2, v54, v75
	s_wait_loadcnt 0x0
	ds_store_b32 v6, v0 offset:80
	v_add_f16_e32 v0, v75, v76
	ds_store_2addr_b32 v6, v1, v4 offset1:10
	v_lshrrev_b32_e32 v1, 16, v54
	v_fmac_f16_e32 v54, -0.5, v0
	v_sub_f16_e32 v0, v77, v78
	s_delay_alu instid0(VALU_DEP_3) | instskip(NEXT) | instid1(VALU_DEP_2)
	v_add_f16_e32 v4, v1, v77
	v_fmamk_f16 v3, v0, 0xbaee, v54
	v_fmac_f16_e32 v54, 0x3aee, v0
	v_add_f16_e32 v0, v77, v78
	s_delay_alu instid0(VALU_DEP_1) | instskip(SKIP_1) | instid1(VALU_DEP_1)
	v_fmac_f16_e32 v1, -0.5, v0
	v_sub_f16_e32 v0, v75, v76
	v_fmamk_f16 v5, v0, 0x3aee, v1
	v_fmac_f16_e32 v1, 0xbaee, v0
	s_delay_alu instid0(VALU_DEP_1) | instskip(SKIP_2) | instid1(VALU_DEP_1)
	v_pack_b32_f16 v0, v54, v1
	v_add_f16_e32 v1, v2, v76
	v_add_f16_e32 v2, v4, v78
	v_pack_b32_f16 v1, v1, v2
	v_pack_b32_f16 v2, v3, v5
	scratch_load_b32 v3, off, off offset:288 th:TH_LOAD_LU ; 4-byte Folded Reload
	s_wait_loadcnt 0x0
	ds_store_2addr_b32 v3, v1, v2 offset1:10
	ds_store_b32 v3, v0 offset:80
	global_wb scope:SCOPE_SE
	s_wait_dscnt 0x0
	s_barrier_signal -1
	s_barrier_wait -1
	global_inv scope:SCOPE_SE
	ds_load_2addr_b32 v[49:50], v160 offset0:72 offset1:172
	ds_load_2addr_b32 v[52:53], v84 offset0:48 offset1:148
	;; [unrolled: 1-line block ×4, first 2 shown]
	s_wait_dscnt 0x3
	v_lshrrev_b32_e32 v0, 16, v50
	v_mul_f16_e64 v1, v244, v50
	s_wait_dscnt 0x2
	v_mul_f16_e64 v6, v245, v53
	s_wait_dscnt 0x1
	v_mul_f16_e64 v9, v234, v62
	v_mul_f16_e64 v56, v244, v0
	v_fma_f16 v57, v24, v0, -v1
	ds_load_2addr_b32 v[0:1], v85 offset0:88 offset1:188
	v_fmac_f16_e32 v56, v24, v50
	s_wait_dscnt 0x0
	v_lshrrev_b32_e32 v2, 16, v0
	v_mul_f16_e64 v3, v250, v0
	s_delay_alu instid0(VALU_DEP_2) | instskip(NEXT) | instid1(VALU_DEP_2)
	v_mul_f16_e64 v67, v250, v2
	v_fma_f16 v65, v25, v2, -v3
	ds_load_2addr_b32 v[2:3], v157 offset0:32 offset1:132
	v_fmac_f16_e32 v67, v25, v0
	s_wait_dscnt 0x0
	v_lshrrev_b32_e32 v4, 16, v3
	v_mul_f16_e64 v5, v241, v3
	s_delay_alu instid0(VALU_DEP_2) | instskip(NEXT) | instid1(VALU_DEP_2)
	v_mul_f16_e64 v63, v241, v4
	v_fma_f16 v59, v26, v4, -v5
	v_lshrrev_b32_e32 v4, 16, v52
	v_mul_f16_e64 v5, v252, v52
	s_delay_alu instid0(VALU_DEP_4) | instskip(SKIP_1) | instid1(VALU_DEP_4)
	v_fmac_f16_e32 v63, v26, v3
	v_lshrrev_b32_e32 v3, 16, v1
	v_mul_f16_e64 v69, v252, v4
	s_delay_alu instid0(VALU_DEP_4) | instskip(SKIP_2) | instid1(VALU_DEP_4)
	v_fma_f16 v68, v27, v4, -v5
	v_mul_f16_e64 v4, v243, v1
	v_lshrrev_b32_e32 v5, 16, v53
	v_fmac_f16_e32 v69, v27, v52
	v_mul_f16_e64 v52, v243, v3
	ds_load_2addr_b32 v[26:27], v146 offset0:104 offset1:204
	v_mul_f16_e64 v54, v245, v5
	v_fma_f16 v55, v33, v3, -v4
	v_fmac_f16_e32 v52, v33, v1
	ds_load_2addr_b32 v[0:1], v127 offset0:144 offset1:244
	v_fmac_f16_e32 v54, v35, v53
	v_fma_f16 v35, v35, v5, -v6
	s_wait_dscnt 0x1
	v_lshrrev_b32_e32 v3, 16, v26
	v_mul_f16_e64 v4, v239, v26
	v_lshrrev_b32_e32 v6, 16, v27
	s_wait_dscnt 0x0
	v_lshrrev_b32_e32 v7, 16, v0
	v_mul_f16_e64 v8, v238, v0
	v_mul_f16_e64 v53, v239, v3
	v_fma_f16 v33, v34, v3, -v4
	v_lshrrev_b32_e32 v3, 16, v2
	v_mul_f16_e64 v50, v238, v7
	v_lshrrev_b32_e32 v4, 16, v208
	v_fma_f16 v51, v32, v7, -v8
	v_fmac_f16_e32 v53, v34, v26
	v_mul_f16_e64 v26, v216, v6
	v_fmac_f16_e32 v50, v32, v0
	v_lshrrev_b32_e32 v0, 16, v1
	v_mul_f16_e32 v25, v4, v3
	v_mul_f16_e64 v7, v216, v27
	v_fmac_f16_e64 v26, v209, v27
	s_delay_alu instid0(VALU_DEP_4) | instskip(NEXT) | instid1(VALU_DEP_4)
	v_mul_f16_e64 v24, v215, v0
	v_fmac_f16_e64 v25, v208, v2
	v_mul_f16_e32 v2, v4, v2
	v_fma_f16 v27, v209, v6, -v7
	v_lshrrev_b32_e32 v6, 16, v210
	v_fmac_f16_e64 v24, v207, v1
	v_mul_f16_e64 v1, v215, v1
	v_fma_f16 v5, v208, v3, -v2
	s_delay_alu instid0(VALU_DEP_2) | instskip(SKIP_4) | instid1(VALU_DEP_2)
	v_fma_f16 v4, v207, v0, -v1
	ds_load_2addr_b32 v[0:1], v148 offset0:120 offset1:220
	s_wait_dscnt 0x0
	v_lshrrev_b32_e32 v2, 16, v0
	v_mul_f16_e32 v3, v6, v0
	v_mul_f16_e32 v32, v6, v2
	s_delay_alu instid0(VALU_DEP_2) | instskip(SKIP_1) | instid1(VALU_DEP_3)
	v_fma_f16 v6, v210, v2, -v3
	v_mul_f16_e64 v2, v225, v1
	v_fmac_f16_e64 v32, v210, v0
	v_lshrrev_b32_e32 v0, 16, v1
	s_delay_alu instid0(VALU_DEP_1) | instskip(NEXT) | instid1(VALU_DEP_4)
	v_mul_f16_e64 v72, v225, v0
	v_fma_f16 v70, v122, v0, -v2
	s_delay_alu instid0(VALU_DEP_2) | instskip(SKIP_4) | instid1(VALU_DEP_2)
	v_fmac_f16_e32 v72, v122, v1
	ds_load_2addr_b32 v[0:1], v144 offset0:8 offset1:108
	s_wait_dscnt 0x0
	v_lshrrev_b32_e32 v2, 16, v0
	v_mul_f16_e64 v3, v232, v0
	v_mul_f16_e64 v75, v232, v2
	s_delay_alu instid0(VALU_DEP_2) | instskip(SKIP_4) | instid1(VALU_DEP_3)
	v_fma_f16 v74, v123, v2, -v3
	ds_load_2addr_b32 v[2:3], v108 offset0:80 offset1:180
	v_fmac_f16_e32 v75, v123, v0
	v_add_f16_e32 v13, v68, v74
	v_sub_f16_e32 v12, v68, v74
	v_sub_f16_e32 v101, v69, v75
	s_wait_dscnt 0x0
	v_lshrrev_b32_e32 v7, 16, v3
	v_mul_f16_e64 v8, v224, v3
	s_delay_alu instid0(VALU_DEP_2) | instskip(NEXT) | instid1(VALU_DEP_2)
	v_mul_f16_e64 v73, v224, v7
	v_fma_f16 v71, v124, v7, -v8
	v_lshrrev_b32_e32 v7, 16, v61
	v_mul_f16_e64 v8, v235, v61
	s_delay_alu instid0(VALU_DEP_4) | instskip(SKIP_1) | instid1(VALU_DEP_4)
	v_fmac_f16_e32 v73, v124, v3
	v_lshrrev_b32_e32 v3, 16, v1
	v_mul_f16_e64 v77, v235, v7
	s_delay_alu instid0(VALU_DEP_4)
	v_fma_f16 v76, v125, v7, -v8
	v_mul_f16_e64 v7, v231, v1
	v_lshrrev_b32_e32 v8, 16, v62
	v_sub_f16_e32 v86, v72, v73
	v_fmac_f16_e32 v77, v125, v61
	v_mul_f16_e64 v61, v231, v3
	v_fma_f16 v66, v21, v3, -v7
	v_mul_f16_e64 v64, v234, v8
	v_lshrrev_b32_e32 v3, 16, v18
	v_mul_f16_e64 v7, v229, v18
	v_fmac_f16_e32 v61, v21, v1
	ds_load_2addr_b32 v[0:1], v97 offset0:64 offset1:164
	v_fmac_f16_e32 v64, v23, v62
	v_mul_f16_e64 v62, v229, v3
	v_fma_f16 v58, v22, v3, -v7
	v_fma_f16 v23, v23, v8, -v9
	v_lshrrev_b32_e32 v3, 16, v2
	v_lshrrev_b32_e32 v8, 16, v212
	v_fmac_f16_e32 v62, v22, v18
	v_mul_f16_e64 v9, v205, v19
	v_sub_f16_e32 v87, v70, v71
	v_sub_f16_e32 v14, v67, v77
	v_mul_f16_e32 v17, v8, v3
	s_delay_alu instid0(VALU_DEP_1)
	v_fmac_f16_e64 v17, v212, v2
	v_mul_f16_e32 v2, v8, v2
	v_lshrrev_b32_e32 v8, 16, v19
	s_wait_dscnt 0x0
	v_lshrrev_b32_e32 v10, 16, v0
	v_mul_f16_e64 v11, v228, v0
	v_fma_f16 v16, v212, v3, -v2
	v_mul_f16_e64 v18, v205, v8
	s_delay_alu instid0(VALU_DEP_4) | instskip(NEXT) | instid1(VALU_DEP_4)
	v_mul_f16_e64 v60, v228, v10
	v_fma_f16 v34, v20, v10, -v11
	v_add_f16_e32 v10, v56, v63
	s_delay_alu instid0(VALU_DEP_4)
	v_fmac_f16_e64 v18, v213, v19
	v_add_f16_e32 v11, v57, v59
	v_fmac_f16_e32 v60, v20, v0
	v_lshrrev_b32_e32 v0, 16, v1
	v_fma_f16 v20, v213, v8, -v9
	v_lshrrev_b32_e32 v8, 16, v214
	v_add_f16_e32 v10, v10, v72
	v_add_f16_e32 v11, v11, v70
	v_mul_f16_e32 v7, v126, v0
	s_delay_alu instid0(VALU_DEP_3) | instskip(NEXT) | instid1(VALU_DEP_3)
	v_add_f16_e32 v10, v10, v73
	v_add_f16_e32 v11, v11, v71
	s_delay_alu instid0(VALU_DEP_3) | instskip(SKIP_1) | instid1(VALU_DEP_1)
	v_fmac_f16_e64 v7, v211, v1
	v_mul_f16_e32 v1, v126, v1
	v_fma_f16 v19, v211, v0, -v1
	ds_load_2addr_b32 v[0:1], v159 offset0:40 offset1:140
	s_wait_dscnt 0x0
	v_lshrrev_b32_e32 v2, 16, v0
	v_mul_f16_e32 v3, v8, v0
	s_delay_alu instid0(VALU_DEP_2) | instskip(NEXT) | instid1(VALU_DEP_2)
	v_mul_f16_e32 v21, v8, v2
	v_fma_f16 v2, v214, v2, -v3
	v_mul_f16_e64 v3, v223, v1
	s_delay_alu instid0(VALU_DEP_3) | instskip(SKIP_1) | instid1(VALU_DEP_1)
	v_fmac_f16_e64 v21, v214, v0
	v_lshrrev_b32_e32 v0, 16, v1
	v_mul_f16_e64 v78, v223, v0
	s_delay_alu instid0(VALU_DEP_4) | instskip(SKIP_1) | instid1(VALU_DEP_3)
	v_fma_f16 v22, v222, v0, -v3
	v_sub_f16_e32 v0, v67, v69
	v_fmac_f16_e64 v78, v222, v1
	v_sub_f16_e32 v1, v77, v75
	s_delay_alu instid0(VALU_DEP_4) | instskip(SKIP_1) | instid1(VALU_DEP_4)
	v_sub_f16_e32 v89, v59, v22
	v_add_f16_e32 v96, v11, v22
	v_sub_f16_e32 v88, v63, v78
	s_delay_alu instid0(VALU_DEP_4) | instskip(SKIP_4) | instid1(VALU_DEP_3)
	v_add_f16_e32 v3, v0, v1
	v_sub_f16_e32 v0, v65, v68
	v_sub_f16_e32 v1, v76, v74
	v_add_f16_e32 v95, v10, v78
	v_sub_f16_e32 v10, v65, v76
	v_add_f16_e32 v79, v0, v1
	v_sub_f16_e32 v0, v63, v72
	v_sub_f16_e32 v1, v78, v73
	s_delay_alu instid0(VALU_DEP_1) | instskip(SKIP_2) | instid1(VALU_DEP_1)
	v_add_f16_e32 v80, v0, v1
	v_sub_f16_e32 v0, v59, v70
	v_sub_f16_e32 v1, v22, v71
	v_add_f16_e32 v83, v0, v1
	v_add_f16_e32 v0, v72, v73
	s_delay_alu instid0(VALU_DEP_1) | instskip(SKIP_1) | instid1(VALU_DEP_2)
	v_fma_f16 v81, -0.5, v0, v56
	v_add_f16_e32 v0, v70, v71
	v_fmamk_f16 v1, v89, 0xbb9c, v81
	s_delay_alu instid0(VALU_DEP_2) | instskip(SKIP_1) | instid1(VALU_DEP_3)
	v_fma_f16 v82, -0.5, v0, v57
	v_fmac_f16_e32 v81, 0x3b9c, v89
	v_fmac_f16_e32 v1, 0xb8b4, v87
	s_delay_alu instid0(VALU_DEP_3) | instskip(SKIP_1) | instid1(VALU_DEP_4)
	v_fmamk_f16 v0, v88, 0x3b9c, v82
	v_fmac_f16_e32 v82, 0xbb9c, v88
	v_fmac_f16_e32 v81, 0x38b4, v87
	s_delay_alu instid0(VALU_DEP_4) | instskip(NEXT) | instid1(VALU_DEP_4)
	v_fmac_f16_e32 v1, 0x34f2, v80
	v_fmac_f16_e32 v0, 0x38b4, v86
	s_delay_alu instid0(VALU_DEP_4) | instskip(NEXT) | instid1(VALU_DEP_4)
	v_fmac_f16_e32 v82, 0xb8b4, v86
	v_fmac_f16_e32 v81, 0x34f2, v80
	s_delay_alu instid0(VALU_DEP_3) | instskip(NEXT) | instid1(VALU_DEP_3)
	v_fmac_f16_e32 v0, 0x34f2, v83
	v_fmac_f16_e32 v82, 0x34f2, v83
	s_delay_alu instid0(VALU_DEP_2) | instskip(SKIP_1) | instid1(VALU_DEP_2)
	v_mul_f16_e32 v90, 0xb8b4, v0
	v_mul_f16_e32 v92, 0x3a79, v0
	v_fmac_f16_e32 v90, 0x3a79, v1
	s_delay_alu instid0(VALU_DEP_2) | instskip(SKIP_4) | instid1(VALU_DEP_2)
	v_fmac_f16_e32 v92, 0x38b4, v1
	ds_load_2addr_b32 v[0:1], v147 offset1:100
	s_wait_dscnt 0x0
	v_lshrrev_b32_e32 v91, 16, v0
	v_add_f16_e32 v8, v0, v67
	v_add_f16_e32 v9, v91, v65
	s_delay_alu instid0(VALU_DEP_2) | instskip(SKIP_1) | instid1(VALU_DEP_3)
	v_add_f16_e32 v8, v8, v69
	v_fma_f16 v13, -0.5, v13, v91
	v_add_f16_e32 v9, v9, v68
	s_delay_alu instid0(VALU_DEP_3) | instskip(NEXT) | instid1(VALU_DEP_3)
	v_add_f16_e32 v8, v8, v75
	v_fmamk_f16 v15, v14, 0x3b9c, v13
	v_sub_f16_e32 v68, v68, v65
	v_add_f16_e32 v65, v65, v76
	v_add_f16_e32 v9, v9, v74
	;; [unrolled: 1-line block ×3, first 2 shown]
	v_fmac_f16_e32 v15, 0x38b4, v101
	v_fmac_f16_e32 v13, 0xbb9c, v14
	v_fmac_f16_e32 v91, -0.5, v65
	v_add_f16_e32 v94, v9, v76
	v_add_f16_e32 v8, v93, v95
	v_fmac_f16_e32 v15, 0x34f2, v79
	v_sub_f16_e32 v65, v72, v63
	v_add_f16_e32 v63, v63, v78
	v_add_f16_e32 v9, v94, v96
	v_fmac_f16_e32 v13, 0xb8b4, v101
	v_add_f16_e32 v100, v15, v92
	v_sub_f16_e32 v72, v55, v23
	v_fmac_f16_e32 v56, -0.5, v63
	v_pack_b32_f16 v8, v8, v9
	v_add_f16_e32 v9, v69, v75
	v_add_f16_e32 v63, v59, v22
	v_sub_f16_e32 v59, v70, v59
	v_sub_f16_e32 v22, v71, v22
	v_fmac_f16_e32 v13, 0x34f2, v79
	v_fma_f16 v9, -0.5, v9, v0
	v_fmac_f16_e32 v57, -0.5, v63
	v_fmamk_f16 v63, v87, 0x3b9c, v56
	v_fmac_f16_e32 v56, 0xbb9c, v87
	s_delay_alu instid0(VALU_DEP_4) | instskip(SKIP_1) | instid1(VALU_DEP_4)
	v_fmamk_f16 v11, v10, 0xbb9c, v9
	v_fmac_f16_e32 v9, 0x3b9c, v10
	v_fmac_f16_e32 v63, 0xb8b4, v89
	s_delay_alu instid0(VALU_DEP_4) | instskip(NEXT) | instid1(VALU_DEP_4)
	v_fmac_f16_e32 v56, 0x38b4, v89
	v_fmac_f16_e32 v11, 0xb8b4, v12
	s_delay_alu instid0(VALU_DEP_4) | instskip(NEXT) | instid1(VALU_DEP_2)
	v_fmac_f16_e32 v9, 0x38b4, v12
	v_fmac_f16_e32 v11, 0x34f2, v3
	s_delay_alu instid0(VALU_DEP_2) | instskip(SKIP_1) | instid1(VALU_DEP_3)
	v_fmac_f16_e32 v9, 0x34f2, v3
	v_mul_f16_e32 v3, 0xb8b4, v82
	v_add_f16_e32 v99, v11, v90
	v_sub_f16_e32 v11, v11, v90
	s_delay_alu instid0(VALU_DEP_3) | instskip(NEXT) | instid1(VALU_DEP_3)
	v_fmac_f16_e32 v3, 0xba79, v81
	v_pack_b32_f16 v104, v99, v100
	ds_load_2addr_b32 v[99:100], v102 offset0:112 offset1:212
	global_wb scope:SCOPE_SE
	s_wait_dscnt 0x0
	s_barrier_signal -1
	s_barrier_wait -1
	global_inv scope:SCOPE_SE
	ds_store_2addr_b32 v191, v8, v104 offset1:30
	v_sub_f16_e32 v8, v69, v67
	v_add_f16_e32 v67, v67, v77
	v_sub_f16_e32 v69, v75, v77
	v_add_f16_e32 v75, v35, v66
	s_delay_alu instid0(VALU_DEP_3) | instskip(NEXT) | instid1(VALU_DEP_3)
	v_fma_f16 v0, -0.5, v67, v0
	v_add_f16_e32 v8, v8, v69
	v_sub_f16_e32 v69, v74, v76
	v_sub_f16_e32 v76, v52, v64
	;; [unrolled: 1-line block ×3, first 2 shown]
	v_fmamk_f16 v67, v12, 0x3b9c, v0
	v_fmac_f16_e32 v0, 0xbb9c, v12
	v_sub_f16_e32 v12, v93, v95
	s_delay_alu instid0(VALU_DEP_3) | instskip(NEXT) | instid1(VALU_DEP_3)
	v_fmac_f16_e32 v67, 0xb8b4, v10
	v_fmac_f16_e32 v0, 0x38b4, v10
	v_mul_f16_e32 v10, 0xba79, v82
	s_delay_alu instid0(VALU_DEP_3) | instskip(NEXT) | instid1(VALU_DEP_3)
	v_fmac_f16_e32 v67, 0x34f2, v8
	v_fmac_f16_e32 v0, 0x34f2, v8
	v_add_f16_e32 v8, v68, v69
	v_fmamk_f16 v69, v101, 0xbb9c, v91
	v_fmac_f16_e32 v91, 0x3b9c, v101
	v_sub_f16_e32 v68, v73, v78
	v_fmac_f16_e32 v10, 0x38b4, v81
	v_sub_f16_e32 v78, v54, v61
	v_fmac_f16_e32 v69, 0x38b4, v14
	v_fmac_f16_e32 v91, 0xb8b4, v14
	v_sub_f16_e32 v14, v94, v96
	s_delay_alu instid0(VALU_DEP_3) | instskip(NEXT) | instid1(VALU_DEP_3)
	v_fmac_f16_e32 v69, 0x34f2, v8
	v_fmac_f16_e32 v91, 0x34f2, v8
	v_add_f16_e32 v8, v65, v68
	s_delay_alu instid0(VALU_DEP_4) | instskip(SKIP_1) | instid1(VALU_DEP_3)
	v_pack_b32_f16 v12, v12, v14
	v_add_f16_e32 v68, v50, v53
	v_fmac_f16_e32 v63, 0x34f2, v8
	v_fmac_f16_e32 v56, 0x34f2, v8
	v_add_f16_e32 v8, v59, v22
	v_fmamk_f16 v22, v86, 0xbb9c, v57
	v_fmac_f16_e32 v57, 0x3b9c, v86
	v_add_f16_e32 v68, v68, v60
	s_delay_alu instid0(VALU_DEP_3) | instskip(NEXT) | instid1(VALU_DEP_3)
	v_fmac_f16_e32 v22, 0x38b4, v88
	v_fmac_f16_e32 v57, 0xb8b4, v88
	s_delay_alu instid0(VALU_DEP_3) | instskip(NEXT) | instid1(VALU_DEP_3)
	v_add_f16_e32 v68, v68, v62
	v_fmac_f16_e32 v22, 0x34f2, v8
	s_delay_alu instid0(VALU_DEP_3) | instskip(NEXT) | instid1(VALU_DEP_2)
	v_fmac_f16_e32 v57, 0x34f2, v8
	v_mul_f16_e32 v8, 0xbb9c, v22
	v_mul_f16_e32 v22, 0x34f2, v22
	s_delay_alu instid0(VALU_DEP_3) | instskip(SKIP_1) | instid1(VALU_DEP_4)
	v_mul_f16_e32 v59, 0xbb9c, v57
	v_mul_f16_e32 v57, 0xb4f2, v57
	v_fmac_f16_e32 v8, 0x34f2, v63
	s_delay_alu instid0(VALU_DEP_4) | instskip(NEXT) | instid1(VALU_DEP_4)
	v_fmac_f16_e32 v22, 0x3b9c, v63
	v_fmac_f16_e32 v59, 0xb4f2, v56
	s_delay_alu instid0(VALU_DEP_4) | instskip(NEXT) | instid1(VALU_DEP_4)
	v_fmac_f16_e32 v57, 0x3b9c, v56
	v_add_f16_e32 v56, v67, v8
	s_delay_alu instid0(VALU_DEP_4) | instskip(SKIP_1) | instid1(VALU_DEP_4)
	v_add_f16_e32 v63, v69, v22
	v_sub_f16_e32 v8, v67, v8
	v_add_f16_e32 v65, v91, v57
	v_sub_f16_e32 v14, v69, v22
	v_sub_f16_e32 v22, v60, v62
	v_pack_b32_f16 v56, v56, v63
	v_add_f16_e32 v63, v0, v59
	v_sub_f16_e32 v0, v0, v59
	v_pack_b32_f16 v8, v8, v14
	v_sub_f16_e32 v59, v34, v58
	v_add_f16_e32 v69, v51, v33
	v_pack_b32_f16 v63, v63, v65
	v_lshrrev_b32_e32 v65, 16, v1
	s_delay_alu instid0(VALU_DEP_3)
	v_add_f16_e32 v69, v69, v34
	ds_store_2addr_b32 v191, v56, v63 offset0:60 offset1:90
	v_add_f16_e32 v56, v9, v3
	v_add_f16_e32 v63, v13, v10
	v_sub_f16_e32 v3, v9, v3
	v_sub_f16_e32 v9, v13, v10
	;; [unrolled: 1-line block ×3, first 2 shown]
	v_add_f16_e32 v13, v34, v58
	v_pack_b32_f16 v56, v56, v63
	v_add_f16_e32 v67, v65, v55
	v_pack_b32_f16 v3, v3, v9
	v_sub_f16_e32 v9, v64, v61
	v_fma_f16 v13, -0.5, v13, v51
	ds_store_2addr_b32 v191, v56, v12 offset0:120 offset1:150
	v_sub_f16_e32 v12, v15, v92
	v_add_f16_e32 v67, v67, v35
	v_add_f16_e32 v69, v69, v58
	v_fma_f16 v75, -0.5, v75, v65
	s_delay_alu instid0(VALU_DEP_4) | instskip(NEXT) | instid1(VALU_DEP_4)
	v_pack_b32_f16 v11, v11, v12
	v_add_f16_e32 v67, v67, v66
	s_delay_alu instid0(VALU_DEP_3)
	v_fmamk_f16 v77, v76, 0x3b9c, v75
	v_fmac_f16_e32 v75, 0xbb9c, v76
	ds_store_2addr_b32 v191, v11, v8 offset0:180 offset1:210
	v_sub_f16_e32 v8, v91, v57
	v_add_f16_e32 v67, v67, v23
	v_fmac_f16_e32 v77, 0x38b4, v78
	v_fmac_f16_e32 v75, 0xb8b4, v78
	s_delay_alu instid0(VALU_DEP_4)
	v_pack_b32_f16 v0, v0, v8
	scratch_load_b32 v8, off, off offset:296 th:TH_LOAD_LU ; 4-byte Folded Reload
	s_wait_loadcnt 0x0
	ds_store_2addr_b32 v8, v0, v3 offset0:112 offset1:142
	v_lshrrev_b32_e32 v8, 16, v177
	v_lshrrev_b32_e32 v0, 16, v99
	s_delay_alu instid0(VALU_DEP_2) | instskip(NEXT) | instid1(VALU_DEP_2)
	v_mul_f16_e32 v3, v8, v99
	v_mul_f16_e32 v8, v8, v0
	s_delay_alu instid0(VALU_DEP_2) | instskip(SKIP_1) | instid1(VALU_DEP_3)
	v_fma_f16 v0, v177, v0, -v3
	v_sub_f16_e32 v3, v52, v54
	v_fmac_f16_e64 v8, v177, v99
	s_delay_alu instid0(VALU_DEP_3) | instskip(NEXT) | instid1(VALU_DEP_3)
	v_sub_f16_e32 v12, v0, v58
	v_add_f16_e32 v3, v3, v9
	v_sub_f16_e32 v9, v55, v35
	s_delay_alu instid0(VALU_DEP_4)
	v_sub_f16_e32 v11, v8, v62
	v_sub_f16_e32 v14, v53, v8
	;; [unrolled: 1-line block ×3, first 2 shown]
	v_add_f16_e32 v68, v68, v8
	v_add_f16_e32 v9, v9, v10
	v_sub_f16_e32 v10, v53, v60
	v_fmamk_f16 v15, v14, 0x3b9c, v13
	v_add_f16_e32 v69, v69, v0
	v_sub_f16_e32 v35, v35, v55
	v_fmac_f16_e32 v13, 0xbb9c, v14
	v_add_f16_e32 v10, v10, v11
	v_sub_f16_e32 v11, v33, v34
	v_fmac_f16_e32 v15, 0x38b4, v22
	v_add_f16_e32 v71, v67, v69
	v_fmac_f16_e32 v13, 0xb8b4, v22
	v_fmac_f16_e32 v77, 0x34f2, v9
	v_add_f16_e32 v11, v11, v12
	v_add_f16_e32 v12, v60, v62
	v_fmac_f16_e32 v75, 0x34f2, v9
	s_delay_alu instid0(VALU_DEP_3) | instskip(NEXT) | instid1(VALU_DEP_3)
	v_fmac_f16_e32 v15, 0x34f2, v11
	v_fma_f16 v12, -0.5, v12, v50
	v_fmac_f16_e32 v13, 0x34f2, v11
	v_sub_f16_e32 v11, v67, v69
	s_delay_alu instid0(VALU_DEP_4) | instskip(NEXT) | instid1(VALU_DEP_4)
	v_mul_f16_e32 v63, 0xb8b4, v15
	v_fmamk_f16 v57, v56, 0xbb9c, v12
	v_mul_f16_e32 v15, 0x3a79, v15
	v_fmac_f16_e32 v12, 0x3b9c, v56
	v_mul_f16_e32 v9, 0xba79, v13
	s_delay_alu instid0(VALU_DEP_4) | instskip(NEXT) | instid1(VALU_DEP_3)
	v_fmac_f16_e32 v57, 0xb8b4, v59
	v_fmac_f16_e32 v12, 0x38b4, v59
	s_delay_alu instid0(VALU_DEP_2) | instskip(NEXT) | instid1(VALU_DEP_2)
	v_fmac_f16_e32 v57, 0x34f2, v10
	v_fmac_f16_e32 v12, 0x34f2, v10
	s_delay_alu instid0(VALU_DEP_2) | instskip(SKIP_2) | instid1(VALU_DEP_4)
	v_fmac_f16_e32 v63, 0x3a79, v57
	v_fmac_f16_e32 v15, 0x38b4, v57
	v_add_f16_e32 v57, v1, v52
	v_fmac_f16_e32 v9, 0x38b4, v12
	s_delay_alu instid0(VALU_DEP_3) | instskip(NEXT) | instid1(VALU_DEP_3)
	v_add_f16_e32 v80, v77, v15
	v_add_f16_e32 v57, v57, v54
	s_delay_alu instid0(VALU_DEP_1) | instskip(NEXT) | instid1(VALU_DEP_1)
	v_add_f16_e32 v57, v57, v61
	v_add_f16_e32 v57, v57, v64
	s_delay_alu instid0(VALU_DEP_1) | instskip(SKIP_2) | instid1(VALU_DEP_3)
	v_add_f16_e32 v70, v57, v68
	v_sub_f16_e32 v10, v57, v68
	v_sub_f16_e32 v57, v6, v16
	v_pack_b32_f16 v70, v70, v71
	v_add_f16_e32 v71, v54, v61
	v_sub_f16_e32 v54, v54, v52
	v_add_f16_e32 v52, v52, v64
	v_sub_f16_e32 v61, v61, v64
	v_pack_b32_f16 v10, v10, v11
	v_fma_f16 v71, -0.5, v71, v1
	v_sub_f16_e32 v11, v77, v15
	v_fmac_f16_e32 v1, -0.5, v52
	v_add_f16_e32 v52, v54, v61
	v_add_f16_e32 v54, v55, v23
	v_sub_f16_e32 v23, v66, v23
	v_fmamk_f16 v73, v72, 0xbb9c, v71
	v_fmamk_f16 v55, v74, 0x3b9c, v1
	v_fmac_f16_e32 v1, 0xbb9c, v74
	v_fmac_f16_e32 v65, -0.5, v54
	v_add_f16_e32 v23, v35, v23
	v_sub_f16_e32 v35, v60, v53
	v_fmac_f16_e32 v55, 0xb8b4, v72
	v_fmac_f16_e32 v1, 0x38b4, v72
	;; [unrolled: 1-line block ×4, first 2 shown]
	v_sub_f16_e32 v60, v32, v17
	v_fmac_f16_e32 v55, 0x34f2, v52
	v_fmac_f16_e32 v1, 0x34f2, v52
	v_add_f16_e32 v52, v53, v8
	v_fmamk_f16 v53, v78, 0xbb9c, v65
	v_fmac_f16_e32 v65, 0x3b9c, v78
	v_sub_f16_e32 v8, v62, v8
	v_fmac_f16_e32 v71, 0x38b4, v74
	v_fmac_f16_e32 v50, -0.5, v52
	v_fmac_f16_e32 v53, 0x38b4, v76
	v_fmac_f16_e32 v65, 0xb8b4, v76
	v_add_f16_e32 v8, v35, v8
	v_fmac_f16_e32 v73, 0x34f2, v3
	v_fmac_f16_e32 v71, 0x34f2, v3
	;; [unrolled: 1-line block ×4, first 2 shown]
	v_add_f16_e32 v23, v33, v0
	v_sub_f16_e32 v0, v58, v0
	v_mul_f16_e32 v3, 0xb8b4, v13
	v_add_f16_e32 v13, v75, v9
	v_add_f16_e32 v79, v73, v63
	v_fmac_f16_e32 v51, -0.5, v23
	v_sub_f16_e32 v23, v34, v33
	v_fmamk_f16 v33, v59, 0x3b9c, v50
	v_fmac_f16_e32 v50, 0xbb9c, v59
	v_fmac_f16_e32 v3, 0xba79, v12
	v_sub_f16_e32 v59, v25, v21
	v_add_f16_e32 v0, v23, v0
	v_fmac_f16_e32 v33, 0xb8b4, v56
	v_fmac_f16_e32 v50, 0x38b4, v56
	v_add_f16_e32 v12, v71, v3
	v_sub_f16_e32 v56, v5, v2
	v_pack_b32_f16 v79, v79, v80
	v_fmac_f16_e32 v33, 0x34f2, v8
	v_fmac_f16_e32 v50, 0x34f2, v8
	v_fmamk_f16 v8, v22, 0xbb9c, v51
	v_fmac_f16_e32 v51, 0x3b9c, v22
	v_pack_b32_f16 v12, v12, v13
	ds_store_2addr_b32 v192, v70, v79 offset1:30
	v_fmac_f16_e32 v8, 0x38b4, v14
	v_fmac_f16_e32 v51, 0xb8b4, v14
	ds_store_2addr_b32 v192, v12, v10 offset0:120 offset1:150
	v_sub_f16_e32 v10, v73, v63
	v_add_f16_e32 v12, v19, v20
	v_fmac_f16_e32 v8, 0x34f2, v0
	v_fmac_f16_e32 v51, 0x34f2, v0
	v_sub_f16_e32 v14, v7, v18
	v_pack_b32_f16 v10, v10, v11
	v_fma_f16 v12, -0.5, v12, v4
	v_mul_f16_e32 v0, 0xbb9c, v8
	v_mul_f16_e32 v8, 0x34f2, v8
	;; [unrolled: 1-line block ×3, first 2 shown]
	s_delay_alu instid0(VALU_DEP_3) | instskip(NEXT) | instid1(VALU_DEP_3)
	v_fmac_f16_e32 v0, 0x34f2, v33
	v_fmac_f16_e32 v8, 0x3b9c, v33
	v_mul_f16_e32 v33, 0xb4f2, v51
	s_delay_alu instid0(VALU_DEP_4)
	v_fmac_f16_e32 v23, 0xb4f2, v50
	v_lshrrev_b32_e32 v51, 16, v49
	v_add_f16_e32 v34, v55, v0
	v_add_f16_e32 v35, v53, v8
	v_sub_f16_e32 v0, v55, v0
	v_sub_f16_e32 v8, v53, v8
	v_fmac_f16_e32 v33, 0x3b9c, v50
	v_add_f16_e32 v52, v51, v5
	v_pack_b32_f16 v34, v34, v35
	v_add_f16_e32 v35, v1, v23
	v_pack_b32_f16 v0, v0, v8
	v_sub_f16_e32 v8, v75, v9
	v_sub_f16_e32 v9, v2, v16
	v_add_f16_e32 v50, v65, v33
	v_add_f16_e32 v52, v52, v6
	ds_store_2addr_b32 v192, v10, v0 offset0:180 offset1:210
	v_sub_f16_e32 v0, v1, v23
	v_sub_f16_e32 v1, v71, v3
	;; [unrolled: 1-line block ×4, first 2 shown]
	v_pack_b32_f16 v35, v35, v50
	v_add_f16_e32 v50, v4, v27
	v_pack_b32_f16 v1, v1, v8
	v_pack_b32_f16 v0, v0, v3
	scratch_load_b32 v3, off, off offset:292 th:TH_LOAD_LU ; 4-byte Folded Reload
	v_sub_f16_e32 v8, v21, v17
	ds_store_2addr_b32 v192, v34, v35 offset0:60 offset1:90
	v_add_f16_e32 v35, v24, v26
	v_add_f16_e32 v50, v50, v19
	;; [unrolled: 1-line block ×4, first 2 shown]
	s_delay_alu instid0(VALU_DEP_4) | instskip(NEXT) | instid1(VALU_DEP_4)
	v_add_f16_e32 v35, v35, v7
	v_add_f16_e32 v50, v50, v20
	s_delay_alu instid0(VALU_DEP_4) | instskip(NEXT) | instid1(VALU_DEP_4)
	v_add_f16_e32 v52, v52, v2
	v_fma_f16 v55, -0.5, v55, v51
	s_delay_alu instid0(VALU_DEP_4) | instskip(NEXT) | instid1(VALU_DEP_2)
	v_add_f16_e32 v35, v35, v18
	v_fmamk_f16 v61, v59, 0x3b9c, v55
	v_fmac_f16_e32 v55, 0xbb9c, v59
	s_delay_alu instid0(VALU_DEP_2) | instskip(NEXT) | instid1(VALU_DEP_2)
	v_fmac_f16_e32 v61, 0x38b4, v60
	v_fmac_f16_e32 v55, 0xb8b4, v60
	s_wait_loadcnt 0x0
	ds_store_2addr_b32 v3, v0, v1 offset0:112 offset1:142
	v_lshrrev_b32_e32 v0, 16, v100
	v_lshrrev_b32_e32 v3, 16, v161
	s_delay_alu instid0(VALU_DEP_1) | instskip(SKIP_1) | instid1(VALU_DEP_2)
	v_mul_f16_e32 v1, v3, v0
	v_mul_f16_e32 v3, v3, v100
	v_fmac_f16_e64 v1, v161, v100
	s_delay_alu instid0(VALU_DEP_2) | instskip(SKIP_1) | instid1(VALU_DEP_3)
	v_fma_f16 v0, v161, v0, -v3
	v_sub_f16_e32 v3, v25, v32
	v_sub_f16_e32 v10, v1, v18
	s_delay_alu instid0(VALU_DEP_3) | instskip(NEXT) | instid1(VALU_DEP_3)
	v_sub_f16_e32 v11, v0, v20
	v_add_f16_e32 v3, v3, v8
	v_sub_f16_e32 v8, v5, v6
	v_sub_f16_e32 v13, v26, v1
	;; [unrolled: 1-line block ×3, first 2 shown]
	v_add_f16_e32 v35, v35, v1
	v_add_f16_e32 v50, v50, v0
	;; [unrolled: 1-line block ×3, first 2 shown]
	v_sub_f16_e32 v9, v26, v7
	v_fmamk_f16 v15, v13, 0x3b9c, v12
	v_fmac_f16_e32 v12, 0xbb9c, v13
	v_add_f16_e32 v54, v52, v50
	v_fmac_f16_e32 v61, 0x34f2, v8
	v_add_f16_e32 v9, v9, v10
	v_sub_f16_e32 v10, v27, v19
	v_fmac_f16_e32 v15, 0x38b4, v14
	v_fmac_f16_e32 v12, 0xb8b4, v14
	;; [unrolled: 1-line block ×3, first 2 shown]
	s_delay_alu instid0(VALU_DEP_4) | instskip(SKIP_2) | instid1(VALU_DEP_3)
	v_add_f16_e32 v10, v10, v11
	v_add_f16_e32 v11, v7, v18
	v_sub_f16_e32 v7, v7, v26
	v_fmac_f16_e32 v15, 0x34f2, v10
	s_delay_alu instid0(VALU_DEP_3) | instskip(SKIP_1) | instid1(VALU_DEP_3)
	v_fma_f16 v11, -0.5, v11, v24
	v_fmac_f16_e32 v12, 0x34f2, v10
	v_mul_f16_e32 v34, 0xb8b4, v15
	s_delay_alu instid0(VALU_DEP_3) | instskip(SKIP_2) | instid1(VALU_DEP_3)
	v_fmamk_f16 v33, v22, 0xbb9c, v11
	v_mul_f16_e32 v15, 0x3a79, v15
	v_fmac_f16_e32 v11, 0x3b9c, v22
	v_fmac_f16_e32 v33, 0xb8b4, v23
	s_delay_alu instid0(VALU_DEP_2) | instskip(NEXT) | instid1(VALU_DEP_2)
	v_fmac_f16_e32 v11, 0x38b4, v23
	v_fmac_f16_e32 v33, 0x34f2, v9
	s_delay_alu instid0(VALU_DEP_2) | instskip(SKIP_1) | instid1(VALU_DEP_3)
	v_fmac_f16_e32 v11, 0x34f2, v9
	v_sub_f16_e32 v9, v52, v50
	v_fmac_f16_e32 v34, 0x3a79, v33
	v_fmac_f16_e32 v15, 0x38b4, v33
	v_add_f16_e32 v33, v49, v25
	s_delay_alu instid0(VALU_DEP_2) | instskip(NEXT) | instid1(VALU_DEP_2)
	v_add_f16_e32 v63, v61, v15
	v_add_f16_e32 v33, v33, v32
	s_delay_alu instid0(VALU_DEP_1) | instskip(NEXT) | instid1(VALU_DEP_1)
	v_add_f16_e32 v33, v33, v17
	v_add_f16_e32 v33, v33, v21
	s_delay_alu instid0(VALU_DEP_1) | instskip(SKIP_1) | instid1(VALU_DEP_2)
	v_add_f16_e32 v53, v33, v35
	v_sub_f16_e32 v8, v33, v35
	v_pack_b32_f16 v53, v53, v54
	v_add_f16_e32 v54, v32, v17
	v_sub_f16_e32 v17, v17, v21
	s_delay_alu instid0(VALU_DEP_4) | instskip(NEXT) | instid1(VALU_DEP_3)
	v_pack_b32_f16 v8, v8, v9
	v_fma_f16 v54, -0.5, v54, v49
	s_delay_alu instid0(VALU_DEP_1) | instskip(SKIP_1) | instid1(VALU_DEP_2)
	v_fmamk_f16 v58, v56, 0xbb9c, v54
	v_fmac_f16_e32 v54, 0x3b9c, v56
	v_fmac_f16_e32 v58, 0xb8b4, v57
	s_delay_alu instid0(VALU_DEP_2) | instskip(NEXT) | instid1(VALU_DEP_2)
	v_fmac_f16_e32 v54, 0x38b4, v57
	v_fmac_f16_e32 v58, 0x34f2, v3
	s_delay_alu instid0(VALU_DEP_2) | instskip(SKIP_1) | instid1(VALU_DEP_3)
	v_fmac_f16_e32 v54, 0x34f2, v3
	v_mul_f16_e32 v3, 0xb8b4, v12
	v_add_f16_e32 v62, v58, v34
	s_delay_alu instid0(VALU_DEP_2) | instskip(NEXT) | instid1(VALU_DEP_2)
	v_fmac_f16_e32 v3, 0xba79, v11
	v_pack_b32_f16 v62, v62, v63
	s_delay_alu instid0(VALU_DEP_2)
	v_add_f16_e32 v10, v54, v3
	ds_store_2addr_b32 v149, v53, v62 offset1:30
	v_add_f16_e32 v53, v25, v21
	v_add_f16_e32 v21, v26, v1
	v_sub_f16_e32 v1, v18, v1
	v_sub_f16_e32 v18, v19, v27
	v_add_f16_e32 v19, v27, v0
	v_sub_f16_e32 v0, v20, v0
	v_fmac_f16_e32 v24, -0.5, v21
	v_add_f16_e32 v1, v7, v1
	v_add_f16_e32 v7, v5, v2
	v_sub_f16_e32 v5, v6, v5
	v_sub_f16_e32 v2, v16, v2
	v_fmac_f16_e32 v4, -0.5, v19
	v_add_f16_e32 v0, v18, v0
	v_fmac_f16_e32 v51, -0.5, v7
	v_fmac_f16_e32 v49, -0.5, v53
	v_add_f16_e32 v2, v5, v2
	v_sub_f16_e32 v25, v32, v25
	s_delay_alu instid0(VALU_DEP_4) | instskip(SKIP_2) | instid1(VALU_DEP_4)
	v_fmamk_f16 v5, v60, 0xbb9c, v51
	v_fmac_f16_e32 v51, 0x3b9c, v60
	v_fmamk_f16 v6, v57, 0x3b9c, v49
	v_add_f16_e32 v17, v25, v17
	v_fmac_f16_e32 v49, 0xbb9c, v57
	v_fmac_f16_e32 v5, 0x38b4, v59
	;; [unrolled: 1-line block ×4, first 2 shown]
	s_delay_alu instid0(VALU_DEP_4) | instskip(NEXT) | instid1(VALU_DEP_4)
	v_fmac_f16_e32 v49, 0x38b4, v56
	v_fmac_f16_e32 v5, 0x34f2, v2
	s_delay_alu instid0(VALU_DEP_4) | instskip(SKIP_4) | instid1(VALU_DEP_4)
	v_fmac_f16_e32 v51, 0x34f2, v2
	v_fmamk_f16 v2, v14, 0xbb9c, v4
	v_fmac_f16_e32 v4, 0x3b9c, v14
	v_fmac_f16_e32 v6, 0x34f2, v17
	;; [unrolled: 1-line block ×4, first 2 shown]
	s_delay_alu instid0(VALU_DEP_4) | instskip(NEXT) | instid1(VALU_DEP_2)
	v_fmac_f16_e32 v4, 0xb8b4, v13
	v_fmac_f16_e32 v2, 0x34f2, v0
	s_delay_alu instid0(VALU_DEP_2) | instskip(SKIP_2) | instid1(VALU_DEP_2)
	v_fmac_f16_e32 v4, 0x34f2, v0
	v_fmamk_f16 v0, v23, 0x3b9c, v24
	v_fmac_f16_e32 v24, 0xbb9c, v23
	v_fmac_f16_e32 v0, 0xb8b4, v22
	s_delay_alu instid0(VALU_DEP_2) | instskip(NEXT) | instid1(VALU_DEP_2)
	v_fmac_f16_e32 v24, 0x38b4, v22
	v_fmac_f16_e32 v0, 0x34f2, v1
	s_delay_alu instid0(VALU_DEP_2) | instskip(SKIP_2) | instid1(VALU_DEP_2)
	v_fmac_f16_e32 v24, 0x34f2, v1
	v_mul_f16_e32 v1, 0xbb9c, v2
	v_mul_f16_e32 v2, 0x34f2, v2
	v_fmac_f16_e32 v1, 0x34f2, v0
	s_delay_alu instid0(VALU_DEP_2) | instskip(SKIP_2) | instid1(VALU_DEP_4)
	v_fmac_f16_e32 v2, 0x3b9c, v0
	v_mul_f16_e32 v0, 0xbb9c, v4
	v_mul_f16_e32 v4, 0xb4f2, v4
	v_add_f16_e32 v7, v6, v1
	s_delay_alu instid0(VALU_DEP_4) | instskip(NEXT) | instid1(VALU_DEP_4)
	v_add_f16_e32 v16, v5, v2
	v_fmac_f16_e32 v0, 0xb4f2, v24
	s_delay_alu instid0(VALU_DEP_4)
	v_fmac_f16_e32 v4, 0x3b9c, v24
	v_sub_f16_e32 v1, v6, v1
	v_sub_f16_e32 v2, v5, v2
	v_pack_b32_f16 v7, v7, v16
	v_add_f16_e32 v16, v49, v0
	v_sub_f16_e32 v0, v49, v0
	v_add_f16_e32 v17, v51, v4
	v_pack_b32_f16 v1, v1, v2
	v_sub_f16_e32 v2, v51, v4
	v_sub_f16_e32 v6, v61, v15
	s_delay_alu instid0(VALU_DEP_4) | instskip(NEXT) | instid1(VALU_DEP_3)
	v_pack_b32_f16 v16, v16, v17
	v_pack_b32_f16 v0, v0, v2
	scratch_load_b32 v2, off, off offset:284 th:TH_LOAD_LU ; 4-byte Folded Reload
	ds_store_2addr_b32 v149, v7, v16 offset0:60 offset1:90
	v_mul_f16_e32 v7, 0xba79, v12
	s_delay_alu instid0(VALU_DEP_1) | instskip(NEXT) | instid1(VALU_DEP_1)
	v_fmac_f16_e32 v7, 0x38b4, v11
	v_add_f16_e32 v11, v55, v7
	s_delay_alu instid0(VALU_DEP_1) | instskip(SKIP_2) | instid1(VALU_DEP_1)
	v_pack_b32_f16 v10, v10, v11
	ds_store_2addr_b32 v149, v10, v8 offset0:120 offset1:150
	v_sub_f16_e32 v8, v58, v34
	v_pack_b32_f16 v5, v8, v6
	ds_store_2addr_b32 v149, v5, v1 offset0:180 offset1:210
	v_sub_f16_e32 v1, v54, v3
	v_sub_f16_e32 v3, v55, v7
	s_delay_alu instid0(VALU_DEP_1)
	v_pack_b32_f16 v1, v1, v3
	s_wait_loadcnt 0x0
	ds_store_2addr_b32 v2, v0, v1 offset0:112 offset1:142
	global_wb scope:SCOPE_SE
	s_wait_dscnt 0x0
	s_barrier_signal -1
	s_barrier_wait -1
	global_inv scope:SCOPE_SE
	ds_load_2addr_b32 v[0:1], v160 offset0:72 offset1:172
	ds_load_2addr_b32 v[20:21], v146 offset0:104 offset1:204
	;; [unrolled: 1-line block ×5, first 2 shown]
	s_wait_dscnt 0x4
	v_lshrrev_b32_e32 v2, 16, v1
	v_mul_f16_e32 v3, v106, v1
	s_delay_alu instid0(VALU_DEP_2) | instskip(NEXT) | instid1(VALU_DEP_2)
	v_mul_f16_e32 v49, v106, v2
	v_fma_f16 v50, v40, v2, -v3
	ds_load_2addr_b32 v[2:3], v85 offset0:88 offset1:188
	v_fmac_f16_e32 v49, v40, v1
	s_wait_dscnt 0x0
	v_lshrrev_b32_e32 v4, 16, v2
	v_mul_f16_e32 v5, v98, v2
	s_delay_alu instid0(VALU_DEP_2) | instskip(NEXT) | instid1(VALU_DEP_2)
	v_mul_f16_e32 v54, v98, v4
	v_fma_f16 v53, v41, v4, -v5
	ds_load_2addr_b32 v[4:5], v157 offset0:32 offset1:132
	v_fmac_f16_e32 v54, v41, v2
	ds_load_2addr_b32 v[1:2], v127 offset0:144 offset1:244
	s_wait_dscnt 0x1
	v_lshrrev_b32_e32 v6, 16, v5
	v_mul_f16_e64 v7, v255, v5
	s_wait_dscnt 0x0
	v_mul_f16_e64 v11, v251, v1
	s_delay_alu instid0(VALU_DEP_3) | instskip(NEXT) | instid1(VALU_DEP_3)
	v_mul_f16_e64 v52, v255, v6
	v_fma_f16 v51, v42, v6, -v7
	ds_load_2addr_b32 v[6:7], v84 offset0:48 offset1:148
	v_fmac_f16_e32 v52, v42, v5
	s_wait_dscnt 0x0
	v_lshrrev_b32_e32 v8, 16, v6
	v_mul_f16_e32 v9, v103, v6
	v_mul_f16_e32 v10, v48, v7
	s_delay_alu instid0(VALU_DEP_3) | instskip(NEXT) | instid1(VALU_DEP_3)
	v_mul_f16_e32 v56, v103, v8
	v_fma_f16 v55, v43, v8, -v9
	v_lshrrev_b32_e32 v9, 16, v7
	v_lshrrev_b32_e32 v8, 16, v3
	s_delay_alu instid0(VALU_DEP_4) | instskip(NEXT) | instid1(VALU_DEP_3)
	v_fmac_f16_e32 v56, v43, v6
	v_mul_f16_e32 v6, v48, v9
	s_delay_alu instid0(VALU_DEP_3)
	v_mul_f16_e64 v5, v254, v8
	v_fma_f16 v18, v47, v9, -v10
	v_mul_f16_e32 v9, v112, v21
	v_lshrrev_b32_e32 v10, 16, v13
	v_fmac_f16_e32 v6, v47, v7
	v_lshrrev_b32_e32 v7, 16, v1
	v_fmac_f16_e32 v5, v45, v3
	v_mul_f16_e64 v3, v254, v3
	v_mul_f16_e64 v25, v248, v10
	s_delay_alu instid0(VALU_DEP_4) | instskip(SKIP_1) | instid1(VALU_DEP_4)
	v_mul_f16_e64 v35, v251, v7
	v_fma_f16 v40, v44, v7, -v11
	v_fma_f16 v7, v45, v8, -v3
	v_lshrrev_b32_e32 v3, 16, v20
	v_mul_f16_e64 v8, v253, v20
	v_fmac_f16_e32 v35, v44, v1
	v_lshrrev_b32_e32 v1, 16, v2
	v_fmac_f16_e32 v25, v39, v13
	v_mul_f16_e64 v17, v253, v3
	v_fma_f16 v16, v46, v3, -v8
	v_lshrrev_b32_e32 v3, 16, v4
	v_mul_f16_e32 v41, v109, v1
	v_lshrrev_b32_e32 v8, 16, v21
	v_fmac_f16_e32 v17, v46, v20
	v_mul_f16_e64 v11, v248, v13
	v_mul_f16_e64 v19, v190, v3
	v_fmac_f16_e64 v41, v180, v2
	v_mul_f16_e32 v2, v109, v2
	v_mul_f16_e32 v20, v112, v8
	v_fma_f16 v22, v182, v8, -v9
	v_fmac_f16_e64 v19, v181, v4
	v_mul_f16_e64 v4, v190, v4
	v_fma_f16 v42, v180, v1, -v2
	ds_load_2addr_b32 v[1:2], v148 offset0:120 offset1:220
	v_fmac_f16_e64 v20, v182, v21
	v_sub_f16_e32 v77, v5, v25
	v_fma_f16 v23, v181, v3, -v4
	s_wait_dscnt 0x0
	v_lshrrev_b32_e32 v4, 16, v1
	v_mul_f16_e64 v8, v189, v1
	s_delay_alu instid0(VALU_DEP_2) | instskip(NEXT) | instid1(VALU_DEP_2)
	v_mul_f16_e64 v3, v189, v4
	v_fma_f16 v4, v183, v4, -v8
	v_mul_f16_e64 v8, v236, v2
	s_delay_alu instid0(VALU_DEP_3) | instskip(SKIP_1) | instid1(VALU_DEP_1)
	v_fmac_f16_e64 v3, v183, v1
	v_lshrrev_b32_e32 v1, 16, v2
	v_mul_f16_e64 v44, v236, v1
	s_delay_alu instid0(VALU_DEP_4) | instskip(NEXT) | instid1(VALU_DEP_2)
	v_fma_f16 v43, v28, v1, -v8
	v_fmac_f16_e32 v44, v28, v2
	ds_load_2addr_b32 v[1:2], v144 offset0:8 offset1:108
	s_wait_dscnt 0x0
	v_lshrrev_b32_e32 v8, 16, v1
	v_mul_f16_e64 v9, v247, v1
	s_delay_alu instid0(VALU_DEP_2) | instskip(NEXT) | instid1(VALU_DEP_2)
	v_mul_f16_e64 v57, v247, v8
	v_fma_f16 v47, v29, v8, -v9
	v_lshrrev_b32_e32 v8, 16, v15
	v_mul_f16_e64 v9, v233, v15
	s_delay_alu instid0(VALU_DEP_4) | instskip(NEXT) | instid1(VALU_DEP_4)
	v_fmac_f16_e32 v57, v29, v1
	v_sub_f16_e32 v62, v55, v47
	s_delay_alu instid0(VALU_DEP_4) | instskip(NEXT) | instid1(VALU_DEP_4)
	v_mul_f16_e64 v46, v233, v8
	v_fma_f16 v45, v30, v8, -v9
	v_lshrrev_b32_e32 v8, 16, v12
	v_mul_f16_e64 v9, v249, v12
	s_delay_alu instid0(VALU_DEP_4) | instskip(NEXT) | instid1(VALU_DEP_3)
	v_fmac_f16_e32 v46, v30, v15
	v_mul_f16_e64 v58, v249, v8
	s_delay_alu instid0(VALU_DEP_3) | instskip(SKIP_2) | instid1(VALU_DEP_4)
	v_fma_f16 v48, v31, v8, -v9
	v_lshrrev_b32_e32 v8, 16, v2
	v_mul_f16_e64 v9, v246, v2
	v_fmac_f16_e32 v58, v31, v12
	v_fma_f16 v31, v39, v10, -v11
	s_delay_alu instid0(VALU_DEP_4) | instskip(NEXT) | instid1(VALU_DEP_4)
	v_mul_f16_e64 v24, v246, v8
	v_fma_f16 v28, v37, v8, -v9
	v_lshrrev_b32_e32 v8, 16, v32
	v_mul_f16_e64 v9, v242, v32
	v_lshrrev_b32_e32 v10, 16, v33
	v_fmac_f16_e32 v24, v37, v2
	ds_load_2addr_b32 v[1:2], v97 offset0:64 offset1:164
	v_mul_f16_e64 v30, v242, v8
	v_fma_f16 v29, v38, v8, -v9
	v_lshrrev_b32_e32 v8, 16, v14
	v_lshrrev_b32_e32 v9, 16, v219
	v_mul_f16_e32 v11, v119, v33
	v_fmac_f16_e32 v30, v38, v32
	v_add_f16_e32 v39, v56, v57
	v_sub_f16_e32 v59, v53, v48
	v_add_f16_e32 v61, v54, v58
	v_sub_f16_e32 v64, v57, v58
	v_sub_f16_e32 v72, v18, v28
	;; [unrolled: 1-line block ×4, first 2 shown]
	s_wait_dscnt 0x0
	v_lshrrev_b32_e32 v12, 16, v1
	v_mul_f16_e64 v13, v240, v1
	s_delay_alu instid0(VALU_DEP_2) | instskip(NEXT) | instid1(VALU_DEP_2)
	v_mul_f16_e64 v27, v240, v12
	v_fma_f16 v26, v36, v12, -v13
	v_mul_f16_e32 v13, v9, v8
	v_mul_f16_e32 v9, v9, v14
	s_delay_alu instid0(VALU_DEP_4) | instskip(SKIP_1) | instid1(VALU_DEP_4)
	v_fmac_f16_e32 v27, v36, v1
	v_lshrrev_b32_e32 v1, 16, v2
	v_fmac_f16_e64 v13, v219, v14
	v_mul_f16_e32 v14, v119, v10
	v_fma_f16 v9, v219, v8, -v9
	v_fma_f16 v8, v220, v10, -v11
	v_mul_f16_e32 v12, v120, v1
	v_lshrrev_b32_e32 v10, 16, v221
	v_fmac_f16_e64 v14, v220, v33
	v_sub_f16_e32 v73, v4, v9
	v_sub_f16_e32 v75, v3, v13
	v_fmac_f16_e64 v12, v218, v2
	v_mul_f16_e32 v2, v120, v2
	s_delay_alu instid0(VALU_DEP_2) | instskip(NEXT) | instid1(VALU_DEP_2)
	v_sub_f16_e32 v69, v12, v14
	v_fma_f16 v15, v218, v1, -v2
	ds_load_2addr_b32 v[1:2], v159 offset0:40 offset1:140
	v_sub_f16_e32 v68, v15, v8
	s_wait_dscnt 0x0
	v_lshrrev_b32_e32 v11, 16, v1
	v_mul_f16_e32 v21, v10, v1
	s_delay_alu instid0(VALU_DEP_2) | instskip(NEXT) | instid1(VALU_DEP_2)
	v_mul_f16_e32 v10, v10, v11
	v_fma_f16 v21, v221, v11, -v21
	v_mul_f16_e64 v11, v227, v2
	s_delay_alu instid0(VALU_DEP_3) | instskip(SKIP_1) | instid1(VALU_DEP_4)
	v_fmac_f16_e64 v10, v221, v1
	v_lshrrev_b32_e32 v1, 16, v2
	v_sub_f16_e32 v78, v23, v21
	s_delay_alu instid0(VALU_DEP_3) | instskip(NEXT) | instid1(VALU_DEP_3)
	v_sub_f16_e32 v79, v19, v10
	v_mul_f16_e64 v37, v227, v1
	v_fma_f16 v36, v226, v1, -v11
	s_delay_alu instid0(VALU_DEP_2)
	v_fmac_f16_e64 v37, v226, v2
	ds_load_2addr_b32 v[1:2], v102 offset0:112 offset1:212
	v_sub_f16_e32 v66, v46, v37
	s_wait_dscnt 0x0
	v_lshrrev_b32_e32 v11, 16, v1
	v_mul_f16_e64 v32, v237, v1
	v_mul_f16_e64 v34, v217, v2
	s_delay_alu instid0(VALU_DEP_3) | instskip(NEXT) | instid1(VALU_DEP_3)
	v_mul_f16_e64 v33, v237, v11
	v_fma_f16 v32, v230, v11, -v32
	s_delay_alu instid0(VALU_DEP_2) | instskip(SKIP_1) | instid1(VALU_DEP_3)
	v_fmac_f16_e64 v33, v230, v1
	v_lshrrev_b32_e32 v1, 16, v2
	v_sub_f16_e32 v67, v16, v32
	s_delay_alu instid0(VALU_DEP_2) | instskip(SKIP_2) | instid1(VALU_DEP_3)
	v_mul_f16_e64 v11, v217, v1
	v_fma_f16 v34, v187, v1, -v34
	v_sub_f16_e32 v1, v54, v56
	v_fmac_f16_e64 v11, v187, v2
	v_sub_f16_e32 v2, v58, v57
	s_delay_alu instid0(VALU_DEP_4) | instskip(NEXT) | instid1(VALU_DEP_3)
	v_sub_f16_e32 v70, v22, v34
	v_sub_f16_e32 v71, v20, v11
	s_delay_alu instid0(VALU_DEP_3) | instskip(SKIP_4) | instid1(VALU_DEP_2)
	v_add_f16_e32 v38, v1, v2
	ds_load_2addr_b32 v[1:2], v147 offset1:100
	s_wait_dscnt 0x0
	v_fma_f16 v39, -0.5, v39, v1
	v_fma_f16 v61, -0.5, v61, v1
	v_fmamk_f16 v60, v59, 0xbb9c, v39
	v_fmac_f16_e32 v39, 0x3b9c, v59
	s_delay_alu instid0(VALU_DEP_3) | instskip(SKIP_1) | instid1(VALU_DEP_4)
	v_fmamk_f16 v63, v62, 0x3b9c, v61
	v_fmac_f16_e32 v61, 0xbb9c, v62
	v_fmac_f16_e32 v60, 0xb8b4, v62
	s_delay_alu instid0(VALU_DEP_4)
	v_fmac_f16_e32 v39, 0x38b4, v62
	v_sub_f16_e32 v62, v56, v54
	v_fmac_f16_e32 v63, 0xb8b4, v59
	v_fmac_f16_e32 v61, 0x38b4, v59
	;; [unrolled: 1-line block ×4, first 2 shown]
	v_add_f16_e32 v38, v1, v54
	v_add_f16_e32 v62, v62, v64
	v_sub_f16_e32 v54, v54, v58
	v_lshrrev_b32_e32 v1, 16, v1
	v_add_f16_e32 v59, v53, v48
	v_add_f16_e32 v38, v38, v56
	v_sub_f16_e32 v56, v56, v57
	v_fmac_f16_e32 v63, 0x34f2, v62
	v_fmac_f16_e32 v61, 0x34f2, v62
	v_add_f16_e32 v62, v1, v53
	v_add_f16_e32 v38, v38, v57
	v_sub_f16_e32 v57, v53, v55
	v_sub_f16_e32 v53, v55, v53
	;; [unrolled: 1-line block ×3, first 2 shown]
	s_delay_alu instid0(VALU_DEP_4) | instskip(SKIP_1) | instid1(VALU_DEP_1)
	v_add_f16_e32 v38, v38, v58
	v_sub_f16_e32 v58, v48, v47
	v_add_f16_e32 v57, v57, v58
	v_add_f16_e32 v58, v55, v47
	s_delay_alu instid0(VALU_DEP_1) | instskip(SKIP_2) | instid1(VALU_DEP_1)
	v_fma_f16 v58, -0.5, v58, v1
	v_fmac_f16_e32 v1, -0.5, v59
	v_add_f16_e32 v59, v62, v55
	v_add_f16_e32 v55, v59, v47
	v_sub_f16_e32 v47, v47, v48
	s_delay_alu instid0(VALU_DEP_4) | instskip(SKIP_1) | instid1(VALU_DEP_4)
	v_fmamk_f16 v59, v56, 0xbb9c, v1
	v_fmac_f16_e32 v1, 0x3b9c, v56
	v_add_f16_e32 v55, v55, v48
	v_fmamk_f16 v48, v54, 0x3b9c, v58
	v_fmac_f16_e32 v58, 0xbb9c, v54
	v_add_f16_e32 v47, v53, v47
	v_fmac_f16_e32 v59, 0x38b4, v54
	v_fmac_f16_e32 v1, 0xb8b4, v54
	v_fmac_f16_e32 v48, 0x38b4, v56
	v_fmac_f16_e32 v58, 0xb8b4, v56
	v_sub_f16_e32 v53, v52, v44
	v_sub_f16_e32 v54, v37, v46
	v_add_f16_e32 v56, v52, v37
	v_fmac_f16_e32 v48, 0x34f2, v57
	v_fmac_f16_e32 v58, 0x34f2, v57
	v_add_f16_e32 v57, v49, v52
	v_add_f16_e32 v53, v53, v54
	;; [unrolled: 1-line block ×3, first 2 shown]
	v_fmac_f16_e32 v59, 0x34f2, v47
	v_fmac_f16_e32 v1, 0x34f2, v47
	v_add_f16_e32 v47, v57, v44
	s_delay_alu instid0(VALU_DEP_4) | instskip(SKIP_2) | instid1(VALU_DEP_4)
	v_fma_f16 v54, -0.5, v54, v49
	v_fmac_f16_e32 v49, -0.5, v56
	v_sub_f16_e32 v56, v51, v36
	v_add_f16_e32 v47, v47, v46
	s_delay_alu instid0(VALU_DEP_3) | instskip(NEXT) | instid1(VALU_DEP_3)
	v_fmamk_f16 v65, v64, 0x3b9c, v49
	v_fmamk_f16 v62, v56, 0xbb9c, v54
	v_fmac_f16_e32 v54, 0x3b9c, v56
	v_fmac_f16_e32 v49, 0xbb9c, v64
	v_add_f16_e32 v47, v47, v37
	v_sub_f16_e32 v37, v52, v37
	v_fmac_f16_e32 v62, 0xb8b4, v64
	v_fmac_f16_e32 v54, 0x38b4, v64
	v_sub_f16_e32 v64, v44, v52
	v_sub_f16_e32 v44, v44, v46
	;; [unrolled: 1-line block ×4, first 2 shown]
	v_fmac_f16_e32 v65, 0xb8b4, v56
	v_fmac_f16_e32 v49, 0x38b4, v56
	;; [unrolled: 1-line block ×4, first 2 shown]
	v_add_f16_e32 v46, v46, v52
	v_add_f16_e32 v52, v43, v45
	;; [unrolled: 1-line block ×5, first 2 shown]
	v_sub_f16_e32 v66, v26, v29
	v_fma_f16 v52, -0.5, v52, v50
	v_fmac_f16_e32 v50, -0.5, v53
	v_add_f16_e32 v53, v56, v43
	v_sub_f16_e32 v43, v43, v51
	v_fmac_f16_e32 v49, 0x34f2, v64
	v_fmac_f16_e32 v65, 0x34f2, v64
	v_sub_f16_e32 v64, v27, v30
	v_add_f16_e32 v51, v53, v45
	v_fmamk_f16 v53, v44, 0xbb9c, v50
	v_fmac_f16_e32 v50, 0x3b9c, v44
	s_delay_alu instid0(VALU_DEP_3)
	v_add_f16_e32 v51, v51, v36
	v_sub_f16_e32 v36, v45, v36
	v_fmamk_f16 v45, v37, 0x3b9c, v52
	v_fmac_f16_e32 v52, 0xbb9c, v37
	v_fmac_f16_e32 v50, 0xb8b4, v37
	;; [unrolled: 1-line block ×3, first 2 shown]
	v_add_f16_e32 v36, v43, v36
	v_fmac_f16_e32 v45, 0x38b4, v44
	v_fmac_f16_e32 v52, 0xb8b4, v44
	s_delay_alu instid0(VALU_DEP_3) | instskip(NEXT) | instid1(VALU_DEP_3)
	v_fmac_f16_e32 v50, 0x34f2, v36
	v_fmac_f16_e32 v45, 0x34f2, v46
	s_delay_alu instid0(VALU_DEP_3) | instskip(SKIP_1) | instid1(VALU_DEP_4)
	v_fmac_f16_e32 v52, 0x34f2, v46
	v_fmac_f16_e32 v53, 0x34f2, v36
	v_mul_f16_e32 v46, 0xb4f2, v50
	s_delay_alu instid0(VALU_DEP_4)
	v_mul_f16_e32 v36, 0xb8b4, v45
	v_mul_f16_e32 v37, 0x3a79, v45
	;; [unrolled: 1-line block ×4, first 2 shown]
	v_fmac_f16_e32 v46, 0x3b9c, v49
	v_fmac_f16_e32 v36, 0x3a79, v62
	;; [unrolled: 1-line block ×4, first 2 shown]
	v_mul_f16_e32 v49, 0xb8b4, v52
	v_mul_f16_e32 v44, 0x34f2, v53
	;; [unrolled: 1-line block ×3, first 2 shown]
	v_fmac_f16_e32 v43, 0x34f2, v65
	v_add_f16_e32 v52, v38, v47
	v_fmac_f16_e32 v49, 0xba79, v54
	v_fmac_f16_e32 v44, 0x3b9c, v65
	;; [unrolled: 1-line block ×3, first 2 shown]
	v_sub_f16_e32 v38, v38, v47
	v_add_f16_e32 v47, v60, v36
	v_add_f16_e32 v56, v39, v49
	v_sub_f16_e32 v39, v39, v49
	v_add_f16_e32 v49, v55, v51
	v_sub_f16_e32 v51, v55, v51
	;; [unrolled: 2-line block ×8, first 2 shown]
	v_pack_b32_f16 v49, v52, v49
	v_pack_b32_f16 v52, v47, v55
	v_lshrrev_b32_e32 v47, 16, v2
	v_pack_b32_f16 v48, v53, v48
	v_pack_b32_f16 v53, v54, v57
	;; [unrolled: 1-line block ×6, first 2 shown]
	v_add_f16_e32 v36, v2, v5
	v_add_f16_e32 v37, v47, v7
	;; [unrolled: 1-line block ×4, first 2 shown]
	v_sub_f16_e32 v45, v61, v45
	v_add_f16_e32 v36, v36, v6
	v_add_f16_e32 v37, v37, v18
	v_add_f16_e32 v38, v38, v27
	v_add_f16_e32 v39, v39, v26
	v_pack_b32_f16 v1, v45, v1
	v_add_f16_e32 v36, v36, v24
	v_add_f16_e32 v37, v37, v28
	;; [unrolled: 1-line block ×4, first 2 shown]
	v_pack_b32_f16 v46, v56, v46
	v_add_f16_e32 v38, v36, v25
	v_add_f16_e32 v36, v37, v31
	;; [unrolled: 1-line block ×4, first 2 shown]
	v_sub_f16_e32 v65, v17, v33
	v_sub_f16_e32 v58, v9, v21
	s_delay_alu instid0(VALU_DEP_4) | instskip(NEXT) | instid1(VALU_DEP_4)
	v_add_f16_e32 v45, v38, v39
	v_add_f16_e32 v50, v36, v37
	s_delay_alu instid0(VALU_DEP_1)
	v_pack_b32_f16 v45, v45, v50
	ds_store_b32 v147, v52 offset:1200
	ds_store_b32 v147, v48 offset:2400
	;; [unrolled: 1-line block ×9, first 2 shown]
	ds_store_2addr_b32 v147, v49, v45 offset1:100
	v_add_f16_e32 v1, v3, v13
	v_add_f16_e32 v43, v19, v10
	v_lshrrev_b32_e32 v54, 16, v0
	v_add_f16_e32 v44, v0, v19
	v_sub_f16_e32 v45, v13, v10
	v_fma_f16 v1, -0.5, v1, v0
	v_fmac_f16_e32 v0, -0.5, v43
	v_sub_f16_e32 v43, v3, v19
	v_sub_f16_e32 v46, v14, v11
	v_add_f16_e32 v48, v42, v22
	v_sub_f16_e32 v51, v24, v25
	v_sub_f16_e32 v52, v28, v31
	v_add_f16_e32 v80, v43, v45
	v_add_f16_e32 v43, v12, v14
	v_add_f16_e32 v45, v41, v20
	v_add_f16_e32 v61, v54, v23
	s_delay_alu instid0(VALU_DEP_3) | instskip(SKIP_1) | instid1(VALU_DEP_1)
	v_fma_f16 v49, -0.5, v43, v41
	v_add_f16_e32 v43, v20, v11
	v_fmac_f16_e32 v41, -0.5, v43
	v_sub_f16_e32 v43, v12, v20
	v_sub_f16_e32 v20, v20, v12
	s_delay_alu instid0(VALU_DEP_3) | instskip(NEXT) | instid1(VALU_DEP_3)
	v_fmamk_f16 v59, v68, 0x3b9c, v41
	v_add_f16_e32 v81, v43, v46
	v_add_f16_e32 v43, v15, v8
	v_sub_f16_e32 v46, v8, v34
	v_fmac_f16_e32 v41, 0xbb9c, v68
	v_fmac_f16_e32 v59, 0xb8b4, v70
	s_delay_alu instid0(VALU_DEP_4) | instskip(SKIP_1) | instid1(VALU_DEP_4)
	v_fma_f16 v50, -0.5, v43, v42
	v_add_f16_e32 v43, v22, v34
	v_fmac_f16_e32 v41, 0x38b4, v70
	s_delay_alu instid0(VALU_DEP_4) | instskip(NEXT) | instid1(VALU_DEP_3)
	v_fmac_f16_e32 v59, 0x34f2, v81
	v_fmac_f16_e32 v42, -0.5, v43
	v_sub_f16_e32 v43, v15, v22
	s_delay_alu instid0(VALU_DEP_4) | instskip(SKIP_1) | instid1(VALU_DEP_3)
	v_fmac_f16_e32 v41, 0x34f2, v81
	v_sub_f16_e32 v22, v22, v15
	v_add_f16_e32 v82, v43, v46
	v_add_f16_e32 v43, v6, v24
	;; [unrolled: 1-line block ×3, first 2 shown]
	s_delay_alu instid0(VALU_DEP_2) | instskip(NEXT) | instid1(VALU_DEP_2)
	v_fma_f16 v43, -0.5, v43, v2
	v_fmac_f16_e32 v2, -0.5, v46
	v_sub_f16_e32 v46, v6, v5
	v_sub_f16_e32 v5, v5, v6
	;; [unrolled: 1-line block ×5, first 2 shown]
	v_add_f16_e32 v83, v46, v51
	v_add_f16_e32 v46, v27, v30
	v_sub_f16_e32 v51, v30, v33
	v_add_f16_e32 v5, v5, v6
	s_delay_alu instid0(VALU_DEP_3) | instskip(SKIP_1) | instid1(VALU_DEP_1)
	v_fma_f16 v55, -0.5, v46, v35
	v_add_f16_e32 v46, v17, v33
	v_fmac_f16_e32 v35, -0.5, v46
	v_sub_f16_e32 v46, v27, v17
	v_sub_f16_e32 v17, v17, v27
	s_delay_alu instid0(VALU_DEP_3) | instskip(NEXT) | instid1(VALU_DEP_3)
	v_fmamk_f16 v57, v66, 0x3b9c, v35
	v_add_f16_e32 v84, v46, v51
	v_add_f16_e32 v46, v26, v29
	v_sub_f16_e32 v51, v29, v32
	v_fmac_f16_e32 v35, 0xbb9c, v66
	v_fmac_f16_e32 v57, 0xb8b4, v67
	s_delay_alu instid0(VALU_DEP_4) | instskip(SKIP_1) | instid1(VALU_DEP_4)
	v_fma_f16 v56, -0.5, v46, v40
	v_add_f16_e32 v46, v16, v32
	v_fmac_f16_e32 v35, 0x38b4, v67
	s_delay_alu instid0(VALU_DEP_4) | instskip(NEXT) | instid1(VALU_DEP_3)
	v_fmac_f16_e32 v57, 0x34f2, v84
	v_fmac_f16_e32 v40, -0.5, v46
	v_sub_f16_e32 v46, v26, v16
	s_delay_alu instid0(VALU_DEP_4) | instskip(SKIP_1) | instid1(VALU_DEP_3)
	v_fmac_f16_e32 v35, 0x34f2, v84
	v_sub_f16_e32 v16, v16, v26
	v_add_f16_e32 v85, v46, v51
	v_add_f16_e32 v46, v18, v28
	;; [unrolled: 1-line block ×3, first 2 shown]
	s_delay_alu instid0(VALU_DEP_4)
	v_add_f16_e32 v16, v16, v25
	v_fmamk_f16 v25, v70, 0xbb9c, v49
	v_fmac_f16_e32 v49, 0x3b9c, v70
	v_fma_f16 v46, -0.5, v46, v47
	v_fmac_f16_e32 v47, -0.5, v51
	v_sub_f16_e32 v51, v18, v7
	v_sub_f16_e32 v7, v7, v18
	v_sub_f16_e32 v18, v31, v28
	v_fmac_f16_e32 v25, 0xb8b4, v68
	v_fmamk_f16 v60, v74, 0xbb9c, v47
	v_add_f16_e32 v86, v51, v52
	v_fmamk_f16 v51, v64, 0xbb9c, v40
	v_fmac_f16_e32 v40, 0x3b9c, v64
	v_fmac_f16_e32 v47, 0x3b9c, v74
	;; [unrolled: 1-line block ×3, first 2 shown]
	v_add_f16_e32 v6, v7, v18
	v_fmac_f16_e32 v51, 0x38b4, v65
	v_fmac_f16_e32 v40, 0xb8b4, v65
	;; [unrolled: 1-line block ×4, first 2 shown]
	v_add_f16_e32 v7, v17, v24
	v_fmac_f16_e32 v51, 0x34f2, v85
	v_fmac_f16_e32 v40, 0x34f2, v85
	;; [unrolled: 1-line block ×3, first 2 shown]
	v_fmamk_f16 v17, v65, 0x3b9c, v56
	v_fmamk_f16 v18, v67, 0xbb9c, v55
	v_mul_f16_e32 v52, 0xbb9c, v51
	v_mul_f16_e32 v53, 0x34f2, v51
	v_add_f16_e32 v51, v4, v9
	v_fmac_f16_e32 v17, 0x38b4, v64
	v_fmac_f16_e32 v18, 0xb8b4, v66
	v_fmac_f16_e32 v52, 0x34f2, v57
	v_fmac_f16_e32 v53, 0x3b9c, v57
	v_add_f16_e32 v57, v23, v21
	v_fma_f16 v51, -0.5, v51, v54
	v_fmac_f16_e32 v17, 0x34f2, v16
	v_fmac_f16_e32 v18, 0x34f2, v7
	v_add_f16_e32 v63, v60, v53
	v_fmac_f16_e32 v54, -0.5, v57
	v_sub_f16_e32 v57, v4, v23
	v_mul_f16_e32 v24, 0xb8b4, v17
	v_mul_f16_e32 v17, 0x3a79, v17
	v_fmamk_f16 v27, v77, 0x3b9c, v46
	v_fmamk_f16 v30, v79, 0x3b9c, v51
	v_add_f16_e32 v87, v57, v58
	v_fmamk_f16 v58, v69, 0xbb9c, v42
	v_fmac_f16_e32 v42, 0x3b9c, v69
	v_fmac_f16_e32 v24, 0x3a79, v18
	;; [unrolled: 1-line block ×3, first 2 shown]
	v_sub_f16_e32 v18, v19, v3
	v_fmac_f16_e32 v58, 0x38b4, v71
	v_fmac_f16_e32 v42, 0xb8b4, v71
	v_sub_f16_e32 v19, v10, v13
	v_fmac_f16_e32 v27, 0x38b4, v74
	v_fmac_f16_e32 v30, 0x38b4, v75
	v_fmac_f16_e32 v58, 0x34f2, v82
	v_fmac_f16_e32 v42, 0x34f2, v82
	v_add_f16_e32 v18, v18, v19
	v_sub_f16_e32 v19, v23, v4
	v_sub_f16_e32 v23, v21, v9
	v_mul_f16_e32 v57, 0xbb9c, v58
	v_mul_f16_e32 v58, 0x34f2, v58
	;; [unrolled: 1-line block ×3, first 2 shown]
	v_fmac_f16_e32 v27, 0x34f2, v6
	v_add_f16_e32 v19, v19, v23
	v_fmac_f16_e32 v57, 0x34f2, v59
	v_fmac_f16_e32 v58, 0x3b9c, v59
	v_fmamk_f16 v59, v72, 0x3b9c, v2
	v_fmac_f16_e32 v2, 0xbb9c, v72
	v_fmac_f16_e32 v81, 0xb4f2, v41
	v_sub_f16_e32 v23, v11, v14
	v_add_f16_e32 v29, v27, v17
	v_fmac_f16_e32 v59, 0xb8b4, v76
	v_fmac_f16_e32 v2, 0x38b4, v76
	;; [unrolled: 1-line block ×3, first 2 shown]
	v_add_f16_e32 v20, v20, v23
	v_sub_f16_e32 v23, v34, v8
	v_fmac_f16_e32 v59, 0x34f2, v83
	v_fmac_f16_e32 v2, 0x34f2, v83
	v_fmac_f16_e32 v56, 0xbb9c, v65
	v_fmac_f16_e32 v25, 0x34f2, v20
	v_add_f16_e32 v22, v22, v23
	v_add_f16_e32 v62, v59, v52
	v_fmamk_f16 v23, v71, 0x3b9c, v50
	v_fmac_f16_e32 v55, 0x3b9c, v67
	v_fmac_f16_e32 v50, 0xbb9c, v71
	;; [unrolled: 1-line block ×3, first 2 shown]
	v_pack_b32_f16 v88, v62, v63
	v_fmamk_f16 v62, v73, 0x3b9c, v0
	v_fmac_f16_e32 v0, 0xbb9c, v73
	v_fmamk_f16 v63, v75, 0xbb9c, v54
	v_fmac_f16_e32 v54, 0x3b9c, v75
	v_fmac_f16_e32 v23, 0x38b4, v69
	;; [unrolled: 1-line block ×9, first 2 shown]
	v_mul_f16_e32 v80, 0xbb9c, v40
	v_mul_f16_e32 v40, 0xb4f2, v40
	v_fmac_f16_e32 v54, 0x34f2, v87
	v_mul_f16_e32 v26, 0xb8b4, v23
	v_mul_f16_e32 v23, 0x3a79, v23
	v_fmac_f16_e32 v80, 0xb4f2, v35
	v_fmac_f16_e32 v40, 0x3b9c, v35
	v_mul_f16_e32 v35, 0xb4f2, v42
	v_fmac_f16_e32 v26, 0x3a79, v25
	v_fmac_f16_e32 v23, 0x38b4, v25
	v_fmamk_f16 v25, v76, 0xbb9c, v43
	v_sub_f16_e32 v42, v47, v40
	v_fmac_f16_e32 v35, 0x3b9c, v41
	v_sub_f16_e32 v41, v2, v80
	v_add_f16_e32 v32, v30, v23
	v_fmac_f16_e32 v25, 0xb8b4, v72
	v_add_f16_e32 v2, v2, v80
	v_sub_f16_e32 v82, v54, v35
	v_pack_b32_f16 v41, v41, v42
	v_sub_f16_e32 v42, v0, v81
	v_fmac_f16_e32 v25, 0x34f2, v5
	v_add_f16_e32 v0, v0, v81
	v_fmac_f16_e32 v55, 0x38b4, v66
	v_fmac_f16_e32 v50, 0xb8b4, v69
	v_pack_b32_f16 v42, v42, v82
	scratch_load_b64 v[82:83], off, off offset:216 th:TH_LOAD_LU ; 8-byte Folded Reload
	v_add_f16_e32 v28, v25, v24
	v_fmac_f16_e32 v56, 0x34f2, v16
	v_fmac_f16_e32 v46, 0xb8b4, v74
	ds_store_2addr_b32 v118, v41, v42 offset0:68 offset1:168
	v_fmac_f16_e32 v55, 0x34f2, v7
	v_pack_b32_f16 v28, v28, v29
	v_fmamk_f16 v29, v78, 0xbb9c, v1
	v_fmac_f16_e32 v1, 0x3b9c, v78
	v_fmac_f16_e32 v51, 0xbb9c, v79
	v_fmac_f16_e32 v49, 0x38b4, v68
	v_fmac_f16_e32 v50, 0x34f2, v22
	v_fmac_f16_e32 v29, 0xb8b4, v73
	v_fmac_f16_e32 v46, 0x34f2, v6
	v_fmac_f16_e32 v1, 0x38b4, v73
	v_fmac_f16_e32 v51, 0xb8b4, v75
	v_fmac_f16_e32 v49, 0x34f2, v20
	v_fmac_f16_e32 v29, 0x34f2, v18
	v_mul_f16_e32 v6, 0xba79, v50
	v_fmac_f16_e32 v1, 0x34f2, v18
	v_fmac_f16_e32 v51, 0x34f2, v19
	v_add_f16_e32 v3, v44, v3
	v_add_f16_e32 v31, v29, v26
	v_fmac_f16_e32 v6, 0x38b4, v49
	v_add_f16_e32 v4, v61, v4
	v_fmac_f16_e32 v63, 0x38b4, v79
	v_add_f16_e32 v3, v3, v13
	v_pack_b32_f16 v31, v31, v32
	v_add_f16_e32 v18, v51, v6
	v_add_f16_e32 v4, v4, v9
	v_sub_f16_e32 v9, v36, v37
	v_add_f16_e32 v3, v3, v10
	ds_store_2addr_b32 v127, v28, v31 offset0:144 offset1:244
	v_add_f16_e32 v28, v47, v40
	v_add_f16_e32 v31, v54, v35
	;; [unrolled: 1-line block ×3, first 2 shown]
	v_fmac_f16_e32 v63, 0x34f2, v87
	v_add_f16_e32 v89, v62, v57
	v_pack_b32_f16 v2, v2, v28
	v_pack_b32_f16 v0, v0, v31
	s_delay_alu instid0(VALU_DEP_4) | instskip(SKIP_4) | instid1(VALU_DEP_3)
	v_add_f16_e32 v90, v63, v58
	ds_store_2addr_b32 v146, v2, v0 offset0:104 offset1:204
	v_mul_f16_e32 v0, 0xb8b4, v56
	v_mul_f16_e32 v2, 0xba79, v56
	v_pack_b32_f16 v89, v89, v90
	v_fmac_f16_e32 v0, 0xba79, v55
	s_delay_alu instid0(VALU_DEP_3)
	v_fmac_f16_e32 v2, 0x38b4, v55
	ds_store_2addr_b32 v136, v88, v89 offset0:60 offset1:160
	v_add_f16_e32 v16, v46, v2
	v_sub_f16_e32 v2, v46, v2
	s_wait_loadcnt 0x0
	v_mad_co_u64_u32 v[41:42], null, s10, v82, 0
	s_delay_alu instid0(VALU_DEP_1) | instskip(SKIP_3) | instid1(VALU_DEP_1)
	v_mad_co_u64_u32 v[82:83], null, s11, v82, v[42:43]
	v_fmac_f16_e32 v43, 0x3b9c, v76
	s_mov_b32 s10, 0xc3ece2a5
	s_mov_b32 s11, 0x3f35d867
	v_fmac_f16_e32 v43, 0x38b4, v72
	s_delay_alu instid0(VALU_DEP_3) | instskip(SKIP_1) | instid1(VALU_DEP_3)
	v_mov_b32_e32 v42, v82
	v_mad_co_u64_u32 v[82:83], null, s8, v151, 0
	v_fmac_f16_e32 v43, 0x34f2, v5
	v_mul_f16_e32 v5, 0xb8b4, v50
	s_delay_alu instid0(VALU_DEP_4) | instskip(NEXT) | instid1(VALU_DEP_3)
	v_lshlrev_b64_e32 v[41:42], 2, v[41:42]
	v_add_f16_e32 v7, v43, v0
	s_delay_alu instid0(VALU_DEP_3) | instskip(SKIP_2) | instid1(VALU_DEP_4)
	v_fmac_f16_e32 v5, 0xba79, v49
	v_sub_f16_e32 v0, v43, v0
	v_mad_co_u64_u32 v[85:86], null, s9, v151, v[83:84]
	v_pack_b32_f16 v7, v7, v16
	s_delay_alu instid0(VALU_DEP_4)
	v_add_f16_e32 v16, v1, v5
	v_sub_f16_e32 v1, v1, v5
	v_sub_f16_e32 v5, v51, v6
	v_pack_b32_f16 v0, v0, v2
	v_add_co_u32 v84, vcc_lo, s0, v41
	v_pack_b32_f16 v16, v16, v18
	s_delay_alu instid0(VALU_DEP_4)
	v_pack_b32_f16 v1, v1, v5
	v_mov_b32_e32 v83, v85
	s_wait_alu 0xfffd
	v_add_co_ci_u32_e32 v85, vcc_lo, s1, v42, vcc_lo
	ds_store_2addr_b32 v148, v7, v16 offset0:20 offset1:120
	v_add_f16_e32 v7, v45, v12
	v_add_f16_e32 v12, v48, v15
	v_sub_f16_e32 v15, v38, v39
	ds_store_2addr_b32 v102, v0, v1 offset0:112 offset1:212
	v_lshlrev_b64_e32 v[41:42], 2, v[82:83]
	v_add_f16_e32 v7, v7, v14
	v_add_f16_e32 v8, v12, v8
	v_pack_b32_f16 v9, v15, v9
	v_sub_f16_e32 v12, v30, v23
	s_delay_alu instid0(VALU_DEP_4) | instskip(NEXT) | instid1(VALU_DEP_4)
	v_add_f16_e32 v7, v7, v11
	v_add_f16_e32 v8, v8, v34
	v_add_co_u32 v41, vcc_lo, v84, v41
	s_wait_alu 0xfffd
	v_add_co_ci_u32_e32 v42, vcc_lo, v85, v42, vcc_lo
	v_sub_f16_e32 v10, v3, v7
	v_sub_f16_e32 v11, v4, v8
	v_add_f16_e32 v0, v3, v7
	v_add_f16_e32 v1, v4, v8
	s_delay_alu instid0(VALU_DEP_3) | instskip(SKIP_1) | instid1(VALU_DEP_3)
	v_pack_b32_f16 v10, v10, v11
	v_sub_f16_e32 v11, v29, v26
	v_pack_b32_f16 v0, v0, v1
	ds_store_2addr_b32 v97, v9, v10 offset0:64 offset1:164
	v_sub_f16_e32 v9, v25, v24
	v_sub_f16_e32 v10, v27, v17
	ds_store_b32 v147, v0 offset:800
	v_pack_b32_f16 v9, v9, v10
	v_pack_b32_f16 v10, v11, v12
	v_sub_f16_e32 v11, v62, v57
	v_sub_f16_e32 v12, v63, v58
	ds_store_2addr_b32 v144, v9, v10 offset0:108 offset1:208
	v_sub_f16_e32 v9, v59, v52
	v_sub_f16_e32 v10, v60, v53
	s_delay_alu instid0(VALU_DEP_1)
	v_pack_b32_f16 v9, v9, v10
	v_pack_b32_f16 v10, v11, v12
	ds_store_2addr_b32 v137, v9, v10 offset0:152 offset1:252
	global_wb scope:SCOPE_SE
	s_wait_dscnt 0x0
	s_barrier_signal -1
	s_barrier_wait -1
	global_inv scope:SCOPE_SE
	s_clause 0x5
	scratch_load_b32 v23, off, off offset:240 th:TH_LOAD_LU
	scratch_load_b32 v24, off, off offset:244 th:TH_LOAD_LU
	scratch_load_b32 v25, off, off offset:232 th:TH_LOAD_LU
	scratch_load_b32 v26, off, off offset:236 th:TH_LOAD_LU
	scratch_load_b32 v31, off, off offset:224 th:TH_LOAD_LU
	scratch_load_b32 v34, off, off offset:228 th:TH_LOAD_LU
	ds_load_2addr_b32 v[1:2], v147 offset1:100
	ds_load_2addr_b32 v[8:9], v160 offset0:72 offset1:172
	s_clause 0x7
	scratch_load_b32 v33, off, off offset:212 th:TH_LOAD_LU
	scratch_load_b32 v30, off, off offset:200 th:TH_LOAD_LU
	;; [unrolled: 1-line block ×8, first 2 shown]
	s_wait_dscnt 0x1
	v_lshrrev_b32_e32 v0, 16, v1
	s_wait_dscnt 0x0
	v_lshrrev_b32_e32 v16, 16, v9
	s_wait_loadcnt 0xd
	v_mul_f16_e32 v3, v23, v1
	s_wait_loadcnt 0xc
	s_delay_alu instid0(VALU_DEP_1) | instskip(SKIP_1) | instid1(VALU_DEP_2)
	v_fma_f16 v3, v24, v0, -v3
	v_mul_f16_e32 v0, v23, v0
	v_cvt_f32_f16_e32 v3, v3
	s_delay_alu instid0(VALU_DEP_2) | instskip(NEXT) | instid1(VALU_DEP_2)
	v_fmac_f16_e32 v0, v24, v1
	v_cvt_f64_f32_e32 v[3:4], v3
	s_delay_alu instid0(VALU_DEP_2) | instskip(NEXT) | instid1(VALU_DEP_1)
	v_cvt_f32_f16_e32 v0, v0
	v_cvt_f64_f32_e32 v[0:1], v0
	s_wait_alu 0xfffe
	s_delay_alu instid0(VALU_DEP_3) | instskip(NEXT) | instid1(VALU_DEP_2)
	v_mul_f64_e32 v[5:6], s[10:11], v[3:4]
	v_mul_f64_e32 v[0:1], s[10:11], v[0:1]
	s_delay_alu instid0(VALU_DEP_2) | instskip(SKIP_3) | instid1(VALU_DEP_4)
	v_and_or_b32 v3, 0x1ff, v6, v5
	v_lshrrev_b32_e32 v4, 8, v6
	v_bfe_u32 v10, v6, 20, 11
	v_lshrrev_b32_e32 v6, 16, v6
	v_cmp_ne_u32_e32 vcc_lo, 0, v3
	v_and_or_b32 v0, 0x1ff, v1, v0
	s_wait_alu 0xfffd
	v_cndmask_b32_e64 v3, 0, 1, vcc_lo
	s_delay_alu instid0(VALU_DEP_2) | instskip(NEXT) | instid1(VALU_DEP_2)
	v_cmp_ne_u32_e64 s2, 0, v0
	v_and_or_b32 v7, 0xffe, v4, v3
	v_sub_nc_u32_e32 v3, 0x3f1, v10
	s_wait_alu 0xf1ff
	s_delay_alu instid0(VALU_DEP_3) | instskip(NEXT) | instid1(VALU_DEP_3)
	v_cndmask_b32_e64 v0, 0, 1, s2
	v_or_b32_e32 v4, 0x1000, v7
	s_delay_alu instid0(VALU_DEP_3) | instskip(NEXT) | instid1(VALU_DEP_1)
	v_med3_i32 v3, v3, 0, 13
	v_lshrrev_b32_e32 v14, v3, v4
	s_delay_alu instid0(VALU_DEP_1) | instskip(NEXT) | instid1(VALU_DEP_1)
	v_lshlrev_b32_e32 v3, v3, v14
	v_cmp_ne_u32_e64 s1, v3, v4
	s_wait_loadcnt 0xb
	v_mul_f16_e32 v3, v25, v9
	s_wait_loadcnt 0xa
	s_delay_alu instid0(VALU_DEP_1) | instskip(NEXT) | instid1(VALU_DEP_1)
	v_fma_f16 v3, v26, v16, -v3
	v_cvt_f32_f16_e32 v3, v3
	s_delay_alu instid0(VALU_DEP_1) | instskip(NEXT) | instid1(VALU_DEP_1)
	v_cvt_f64_f32_e32 v[3:4], v3
	v_mul_f64_e32 v[12:13], s[10:11], v[3:4]
	s_delay_alu instid0(VALU_DEP_1)
	v_and_or_b32 v3, 0x1ff, v13, v12
	v_lshrrev_b32_e32 v4, 8, v13
	v_bfe_u32 v19, v13, 20, 11
	ds_load_2addr_b32 v[11:12], v110 offset0:88 offset1:188
	v_cmp_ne_u32_e32 vcc_lo, 0, v3
	s_wait_alu 0xfffd
	v_cndmask_b32_e64 v3, 0, 1, vcc_lo
	s_delay_alu instid0(VALU_DEP_1) | instskip(SKIP_1) | instid1(VALU_DEP_2)
	v_and_or_b32 v18, 0xffe, v4, v3
	v_sub_nc_u32_e32 v3, 0x3f1, v19
	v_or_b32_e32 v4, 0x1000, v18
	s_delay_alu instid0(VALU_DEP_2) | instskip(SKIP_2) | instid1(VALU_DEP_2)
	v_med3_i32 v3, v3, 0, 13
	s_wait_dscnt 0x0
	v_lshrrev_b32_e32 v17, 16, v11
	v_lshrrev_b32_e32 v20, v3, v4
	s_delay_alu instid0(VALU_DEP_1) | instskip(NEXT) | instid1(VALU_DEP_1)
	v_lshlrev_b32_e32 v3, v3, v20
	v_cmp_ne_u32_e64 s0, v3, v4
	s_wait_loadcnt 0x9
	v_mul_f16_e32 v3, v31, v11
	s_wait_loadcnt 0x8
	s_delay_alu instid0(VALU_DEP_1)
	v_fma_f16 v3, v34, v17, -v3
	v_mul_f16_e32 v17, v31, v17
	scratch_load_b32 v31, off, off offset:192 th:TH_LOAD_LU ; 4-byte Folded Reload
	v_cvt_f32_f16_e32 v3, v3
	v_fmac_f16_e32 v17, v34, v11
	scratch_load_b32 v34, off, off offset:188 th:TH_LOAD_LU ; 4-byte Folded Reload
	v_cvt_f64_f32_e32 v[3:4], v3
	v_cvt_f32_f16_e32 v11, v17
	s_delay_alu instid0(VALU_DEP_2) | instskip(NEXT) | instid1(VALU_DEP_1)
	v_mul_f64_e32 v[3:4], s[10:11], v[3:4]
	v_and_or_b32 v3, 0x1ff, v4, v3
	v_lshrrev_b32_e32 v5, 8, v4
	s_delay_alu instid0(VALU_DEP_2) | instskip(SKIP_2) | instid1(VALU_DEP_1)
	v_cmp_ne_u32_e32 vcc_lo, 0, v3
	s_wait_alu 0xfffd
	v_cndmask_b32_e64 v3, 0, 1, vcc_lo
	v_and_or_b32 v3, 0xffe, v5, v3
	v_bfe_u32 v5, v4, 20, 11
	v_lshrrev_b32_e32 v4, 16, v4
	s_delay_alu instid0(VALU_DEP_3) | instskip(NEXT) | instid1(VALU_DEP_3)
	v_or_b32_e32 v22, 0x1000, v3
	v_sub_nc_u32_e32 v15, 0x3f1, v5
	v_add_nc_u32_e32 v5, 0xfffffc10, v5
	s_delay_alu instid0(VALU_DEP_2) | instskip(NEXT) | instid1(VALU_DEP_1)
	v_med3_i32 v21, v15, 0, 13
	v_lshrrev_b32_e32 v15, v21, v22
	s_delay_alu instid0(VALU_DEP_1) | instskip(NEXT) | instid1(VALU_DEP_1)
	v_lshlrev_b32_e32 v21, v21, v15
	v_cmp_ne_u32_e32 vcc_lo, v21, v22
	v_lshrrev_b32_e32 v21, 8, v1
	s_delay_alu instid0(VALU_DEP_1) | instskip(SKIP_2) | instid1(VALU_DEP_3)
	v_and_or_b32 v0, 0xffe, v21, v0
	v_bfe_u32 v21, v1, 20, 11
	v_lshrrev_b32_e32 v1, 16, v1
	v_or_b32_e32 v23, 0x1000, v0
	s_delay_alu instid0(VALU_DEP_3) | instskip(SKIP_1) | instid1(VALU_DEP_2)
	v_sub_nc_u32_e32 v22, 0x3f1, v21
	v_add_nc_u32_e32 v21, 0xfffffc10, v21
	v_med3_i32 v22, v22, 0, 13
	s_delay_alu instid0(VALU_DEP_1) | instskip(NEXT) | instid1(VALU_DEP_1)
	v_lshrrev_b32_e32 v24, v22, v23
	v_lshlrev_b32_e32 v22, v22, v24
	s_delay_alu instid0(VALU_DEP_1) | instskip(SKIP_2) | instid1(VALU_DEP_2)
	v_cmp_ne_u32_e64 s2, v22, v23
	v_lshl_or_b32 v23, v21, 12, v0
	s_wait_alu 0xf1ff
	v_cndmask_b32_e64 v22, 0, 1, s2
	v_cmp_gt_i32_e64 s2, 1, v21
	s_delay_alu instid0(VALU_DEP_2) | instskip(SKIP_1) | instid1(VALU_DEP_1)
	v_or_b32_e32 v22, v24, v22
	s_wait_alu 0xf1ff
	v_cndmask_b32_e64 v22, v23, v22, s2
	s_delay_alu instid0(VALU_DEP_1) | instskip(NEXT) | instid1(VALU_DEP_1)
	v_and_b32_e32 v23, 7, v22
	v_cmp_lt_i32_e64 s2, 5, v23
	v_cmp_eq_u32_e64 s3, 3, v23
	v_cndmask_b32_e64 v23, 0, 1, s1
	v_cmp_ne_u32_e64 s1, 0, v0
	v_add_nc_u32_e32 v0, 0xfffffc10, v10
	s_delay_alu instid0(VALU_DEP_4) | instskip(NEXT) | instid1(VALU_DEP_3)
	s_or_b32 s2, s3, s2
	v_or_b32_e32 v14, v14, v23
	v_cmp_ne_u32_e64 s3, 0, v7
	s_delay_alu instid0(VALU_DEP_3) | instskip(SKIP_1) | instid1(VALU_DEP_1)
	v_lshl_or_b32 v10, v0, 12, v7
	v_cmp_gt_i32_e64 s4, 1, v0
	v_cndmask_b32_e64 v10, v10, v14, s4
	v_lshrrev_b32_e32 v14, 2, v22
	v_cndmask_b32_e64 v22, 0, 1, s1
	v_cmp_eq_u32_e64 s1, 0x40f, v21
	v_cmp_gt_i32_e64 s4, 1, v5
	v_lshrrev_b32_e32 v7, 2, v10
	s_wait_alu 0xfffe
	v_add_co_ci_u32_e64 v14, s2, 0, v14, s2
	v_cmp_gt_i32_e64 s2, 31, v21
	v_lshl_or_b32 v22, v22, 9, 0x7c00
	v_and_b32_e32 v21, 7, v10
	s_wait_alu 0xf1ff
	v_cndmask_b32_e64 v10, 0, 1, s3
	v_cndmask_b32_e64 v14, 0x7c00, v14, s2
	s_delay_alu instid0(VALU_DEP_3) | instskip(NEXT) | instid1(VALU_DEP_3)
	v_cmp_eq_u32_e64 s2, 3, v21
	v_lshl_or_b32 v10, v10, 9, 0x7c00
	s_delay_alu instid0(VALU_DEP_3) | instskip(SKIP_1) | instid1(VALU_DEP_2)
	v_cndmask_b32_e64 v14, v14, v22, s1
	v_cmp_lt_i32_e64 s1, 5, v21
	v_and_or_b32 v1, 0x8000, v1, v14
	s_delay_alu instid0(VALU_DEP_2)
	s_or_b32 s1, s2, s1
	s_wait_alu 0xfffe
	v_add_co_ci_u32_e64 v7, s1, 0, v7, s1
	v_cmp_gt_i32_e64 s1, 31, v0
	v_and_b32_e32 v1, 0xffff, v1
	s_wait_alu 0xf1ff
	s_delay_alu instid0(VALU_DEP_2) | instskip(SKIP_2) | instid1(VALU_DEP_1)
	v_cndmask_b32_e64 v7, 0x7c00, v7, s1
	v_cmp_eq_u32_e64 s1, 0x40f, v0
	s_wait_alu 0xf1ff
	v_cndmask_b32_e64 v0, v7, v10, s1
	s_delay_alu instid0(VALU_DEP_1) | instskip(SKIP_1) | instid1(VALU_DEP_2)
	v_and_or_b32 v0, 0x8000, v6, v0
	v_mul_f16_e32 v6, v25, v16
	v_lshl_or_b32 v0, v0, 16, v1
	s_delay_alu instid0(VALU_DEP_2)
	v_fmac_f16_e32 v6, v26, v9
	scratch_load_b32 v26, off, off offset:208 th:TH_LOAD_LU ; 4-byte Folded Reload
	global_store_b32 v[41:42], v0, off
	v_cvt_f32_f16_e32 v6, v6
	v_add_co_u32 v0, s1, v41, s12
	s_wait_alu 0xf1ff
	v_add_co_ci_u32_e64 v1, s1, s13, v42, s1
	s_delay_alu instid0(VALU_DEP_3) | instskip(SKIP_2) | instid1(VALU_DEP_1)
	v_cvt_f64_f32_e32 v[6:7], v6
	scratch_load_b32 v41, off, off offset:172 th:TH_LOAD_LU ; 4-byte Folded Reload
	v_mul_f64_e32 v[6:7], s[10:11], v[6:7]
	v_and_or_b32 v6, 0x1ff, v7, v6
	v_lshrrev_b32_e32 v9, 8, v7
	s_delay_alu instid0(VALU_DEP_2) | instskip(SKIP_1) | instid1(VALU_DEP_1)
	v_cmp_ne_u32_e64 s1, 0, v6
	s_wait_alu 0xf1ff
	v_cndmask_b32_e64 v6, 0, 1, s1
	s_delay_alu instid0(VALU_DEP_1) | instskip(SKIP_2) | instid1(VALU_DEP_3)
	v_and_or_b32 v6, 0xffe, v9, v6
	v_bfe_u32 v9, v7, 20, 11
	v_lshrrev_b32_e32 v7, 16, v7
	v_or_b32_e32 v14, 0x1000, v6
	s_delay_alu instid0(VALU_DEP_3) | instskip(SKIP_1) | instid1(VALU_DEP_2)
	v_sub_nc_u32_e32 v10, 0x3f1, v9
	v_add_nc_u32_e32 v9, 0xfffffc10, v9
	v_med3_i32 v10, v10, 0, 13
	s_delay_alu instid0(VALU_DEP_1) | instskip(NEXT) | instid1(VALU_DEP_1)
	v_lshrrev_b32_e32 v16, v10, v14
	v_lshlrev_b32_e32 v10, v10, v16
	s_delay_alu instid0(VALU_DEP_1) | instskip(SKIP_2) | instid1(VALU_DEP_2)
	v_cmp_ne_u32_e64 s1, v10, v14
	v_lshl_or_b32 v14, v9, 12, v6
	s_wait_alu 0xf1ff
	v_cndmask_b32_e64 v10, 0, 1, s1
	v_cmp_gt_i32_e64 s1, 1, v9
	s_delay_alu instid0(VALU_DEP_2) | instskip(SKIP_1) | instid1(VALU_DEP_1)
	v_or_b32_e32 v10, v16, v10
	s_wait_alu 0xf1ff
	v_cndmask_b32_e64 v10, v14, v10, s1
	s_delay_alu instid0(VALU_DEP_1) | instskip(SKIP_1) | instid1(VALU_DEP_2)
	v_and_b32_e32 v14, 7, v10
	v_lshrrev_b32_e32 v10, 2, v10
	v_cmp_lt_i32_e64 s1, 5, v14
	v_cmp_eq_u32_e64 s2, 3, v14
	v_cndmask_b32_e64 v14, 0, 1, s0
	v_cmp_ne_u32_e64 s0, 0, v6
	v_add_nc_u32_e32 v6, 0xfffffc10, v19
	s_delay_alu instid0(VALU_DEP_4) | instskip(NEXT) | instid1(VALU_DEP_3)
	s_or_b32 s1, s2, s1
	v_or_b32_e32 v14, v20, v14
	s_wait_alu 0xfffe
	v_add_co_ci_u32_e64 v10, s1, 0, v10, s1
	v_lshl_or_b32 v16, v6, 12, v18
	v_cmp_gt_i32_e64 s3, 1, v6
	v_cmp_gt_i32_e64 s1, 31, v9
	v_cmp_ne_u32_e64 s2, 0, v18
	s_wait_alu 0xf1ff
	s_delay_alu instid0(VALU_DEP_3) | instskip(SKIP_3) | instid1(VALU_DEP_3)
	v_cndmask_b32_e64 v14, v16, v14, s3
	v_cndmask_b32_e64 v16, 0, 1, s0
	;; [unrolled: 1-line block ×3, first 2 shown]
	v_cmp_eq_u32_e64 s0, 0x40f, v9
	v_lshl_or_b32 v16, v16, 9, 0x7c00
	s_wait_alu 0xf1ff
	s_delay_alu instid0(VALU_DEP_1) | instskip(SKIP_1) | instid1(VALU_DEP_2)
	v_cndmask_b32_e64 v9, v10, v16, s0
	v_and_b32_e32 v10, 7, v14
	v_and_or_b32 v7, 0x8000, v7, v9
	s_delay_alu instid0(VALU_DEP_2) | instskip(SKIP_4) | instid1(VALU_DEP_4)
	v_cmp_lt_i32_e64 s0, 5, v10
	v_cmp_eq_u32_e64 s1, 3, v10
	v_lshrrev_b32_e32 v10, 2, v14
	v_cndmask_b32_e64 v14, 0, 1, s2
	v_and_b32_e32 v7, 0xffff, v7
	s_or_b32 s0, s1, s0
	s_wait_alu 0xfffe
	v_add_co_ci_u32_e64 v10, s0, 0, v10, s0
	v_cmp_gt_i32_e64 s0, 31, v6
	v_lshl_or_b32 v14, v14, 9, 0x7c00
	s_wait_alu 0xf1ff
	s_delay_alu instid0(VALU_DEP_2) | instskip(SKIP_2) | instid1(VALU_DEP_1)
	v_cndmask_b32_e64 v10, 0x7c00, v10, s0
	v_cmp_eq_u32_e64 s0, 0x40f, v6
	s_wait_alu 0xf1ff
	v_cndmask_b32_e64 v6, v10, v14, s0
	v_lshrrev_b32_e32 v10, 16, v13
	v_add_co_u32 v20, s0, v0, s12
	s_wait_alu 0xf1ff
	v_add_co_ci_u32_e64 v21, s0, s13, v1, s0
	s_delay_alu instid0(VALU_DEP_3)
	v_and_or_b32 v6, 0x8000, v10, v6
	ds_load_2addr_b32 v[9:10], v107 offset0:48 offset1:148
	v_lshl_or_b32 v6, v6, 16, v7
	global_store_b32 v[0:1], v6, off
	ds_load_2addr_b32 v[6:7], v157 offset0:32 offset1:132
	s_wait_dscnt 0x0
	v_lshrrev_b32_e32 v25, 16, v7
	s_wait_loadcnt 0x1
	v_mul_f16_e32 v0, v26, v7
	s_delay_alu instid0(VALU_DEP_1) | instskip(NEXT) | instid1(VALU_DEP_1)
	v_fma_f16 v0, v33, v25, -v0
	v_cvt_f32_f16_e32 v0, v0
	s_delay_alu instid0(VALU_DEP_1) | instskip(NEXT) | instid1(VALU_DEP_1)
	v_cvt_f64_f32_e32 v[0:1], v0
	v_mul_f64_e32 v[13:14], s[10:11], v[0:1]
	s_delay_alu instid0(VALU_DEP_1)
	v_and_or_b32 v0, 0x1ff, v14, v13
	v_lshrrev_b32_e32 v1, 8, v14
	v_bfe_u32 v28, v14, 20, 11
	v_lshrrev_b32_e32 v13, 16, v9
	v_lshrrev_b32_e32 v14, 16, v14
	v_cmp_ne_u32_e64 s0, 0, v0
	s_wait_alu 0xf1ff
	s_delay_alu instid0(VALU_DEP_1) | instskip(NEXT) | instid1(VALU_DEP_1)
	v_cndmask_b32_e64 v0, 0, 1, s0
	v_and_or_b32 v27, 0xffe, v1, v0
	v_sub_nc_u32_e32 v0, 0x3f1, v28
	s_delay_alu instid0(VALU_DEP_2) | instskip(NEXT) | instid1(VALU_DEP_2)
	v_or_b32_e32 v1, 0x1000, v27
	v_med3_i32 v0, v0, 0, 13
	s_delay_alu instid0(VALU_DEP_1) | instskip(NEXT) | instid1(VALU_DEP_1)
	v_lshrrev_b32_e32 v29, v0, v1
	v_lshlrev_b32_e32 v0, v0, v29
	s_delay_alu instid0(VALU_DEP_1) | instskip(SKIP_1) | instid1(VALU_DEP_1)
	v_cmp_ne_u32_e64 s2, v0, v1
	v_mul_f16_e32 v0, v30, v9
	v_fma_f16 v0, v32, v13, -v0
	s_delay_alu instid0(VALU_DEP_1) | instskip(NEXT) | instid1(VALU_DEP_1)
	v_cvt_f32_f16_e32 v0, v0
	v_cvt_f64_f32_e32 v[0:1], v0
	s_delay_alu instid0(VALU_DEP_1) | instskip(NEXT) | instid1(VALU_DEP_1)
	v_mul_f64_e32 v[0:1], s[10:11], v[0:1]
	v_and_or_b32 v0, 0x1ff, v1, v0
	v_lshrrev_b32_e32 v16, 8, v1
	s_delay_alu instid0(VALU_DEP_2) | instskip(SKIP_1) | instid1(VALU_DEP_1)
	v_cmp_ne_u32_e64 s0, 0, v0
	s_wait_alu 0xf1ff
	v_cndmask_b32_e64 v0, 0, 1, s0
	s_delay_alu instid0(VALU_DEP_1) | instskip(SKIP_2) | instid1(VALU_DEP_3)
	v_and_or_b32 v0, 0xffe, v16, v0
	v_bfe_u32 v16, v1, 20, 11
	v_lshrrev_b32_e32 v1, 16, v1
	v_or_b32_e32 v22, 0x1000, v0
	s_delay_alu instid0(VALU_DEP_3) | instskip(NEXT) | instid1(VALU_DEP_1)
	v_sub_nc_u32_e32 v18, 0x3f1, v16
	v_med3_i32 v18, v18, 0, 13
	s_delay_alu instid0(VALU_DEP_1) | instskip(NEXT) | instid1(VALU_DEP_1)
	v_lshrrev_b32_e32 v19, v18, v22
	v_lshlrev_b32_e32 v18, v18, v19
	s_delay_alu instid0(VALU_DEP_1) | instskip(SKIP_1) | instid1(VALU_DEP_1)
	v_cmp_ne_u32_e64 s1, v18, v22
	v_cvt_f64_f32_e32 v[17:18], v11
	v_mul_f64_e32 v[17:18], s[10:11], v[17:18]
	s_delay_alu instid0(VALU_DEP_1) | instskip(SKIP_1) | instid1(VALU_DEP_2)
	v_and_or_b32 v11, 0x1ff, v18, v17
	v_lshrrev_b32_e32 v17, 8, v18
	v_cmp_ne_u32_e64 s0, 0, v11
	s_wait_alu 0xf1ff
	s_delay_alu instid0(VALU_DEP_1) | instskip(NEXT) | instid1(VALU_DEP_1)
	v_cndmask_b32_e64 v11, 0, 1, s0
	v_and_or_b32 v11, 0xffe, v17, v11
	v_bfe_u32 v17, v18, 20, 11
	s_delay_alu instid0(VALU_DEP_2) | instskip(NEXT) | instid1(VALU_DEP_2)
	v_or_b32_e32 v23, 0x1000, v11
	v_sub_nc_u32_e32 v22, 0x3f1, v17
	v_add_nc_u32_e32 v17, 0xfffffc10, v17
	s_delay_alu instid0(VALU_DEP_2) | instskip(NEXT) | instid1(VALU_DEP_1)
	v_med3_i32 v22, v22, 0, 13
	v_lshrrev_b32_e32 v24, v22, v23
	s_delay_alu instid0(VALU_DEP_1) | instskip(NEXT) | instid1(VALU_DEP_1)
	v_lshlrev_b32_e32 v22, v22, v24
	v_cmp_ne_u32_e64 s0, v22, v23
	v_lshl_or_b32 v23, v17, 12, v11
	s_wait_alu 0xf1ff
	s_delay_alu instid0(VALU_DEP_2) | instskip(SKIP_1) | instid1(VALU_DEP_2)
	v_cndmask_b32_e64 v22, 0, 1, s0
	v_cmp_gt_i32_e64 s0, 1, v17
	v_or_b32_e32 v22, v24, v22
	s_wait_alu 0xf1ff
	s_delay_alu instid0(VALU_DEP_1) | instskip(NEXT) | instid1(VALU_DEP_1)
	v_cndmask_b32_e64 v22, v23, v22, s0
	v_and_b32_e32 v23, 7, v22
	s_delay_alu instid0(VALU_DEP_1)
	v_cmp_lt_i32_e64 s0, 5, v23
	v_cmp_eq_u32_e64 s3, 3, v23
	s_wait_alu 0xfffd
	v_cndmask_b32_e64 v23, 0, 1, vcc_lo
	v_cmp_ne_u32_e32 vcc_lo, 0, v11
	v_lshl_or_b32 v11, v5, 12, v3
	s_or_b32 s0, s3, s0
	s_delay_alu instid0(VALU_DEP_3) | instskip(SKIP_2) | instid1(VALU_DEP_3)
	v_or_b32_e32 v15, v15, v23
	v_cmp_ne_u32_e64 s3, 0, v3
	v_lshrrev_b32_e32 v3, 16, v18
	v_cndmask_b32_e64 v11, v11, v15, s4
	v_lshrrev_b32_e32 v15, 2, v22
	s_wait_alu 0xfffd
	v_cndmask_b32_e64 v22, 0, 1, vcc_lo
	v_cmp_eq_u32_e32 vcc_lo, 0x40f, v17
	s_wait_alu 0xfffe
	v_add_co_ci_u32_e64 v15, s0, 0, v15, s0
	v_cmp_gt_i32_e64 s0, 31, v17
	v_lshl_or_b32 v22, v22, 9, 0x7c00
	v_and_b32_e32 v17, 7, v11
	v_lshrrev_b32_e32 v11, 2, v11
	s_wait_alu 0xf1ff
	v_cndmask_b32_e64 v15, 0x7c00, v15, s0
	s_delay_alu instid0(VALU_DEP_3) | instskip(SKIP_1) | instid1(VALU_DEP_2)
	v_cmp_eq_u32_e64 s0, 3, v17
	s_wait_alu 0xfffd
	v_cndmask_b32_e32 v15, v15, v22, vcc_lo
	v_cmp_lt_i32_e32 vcc_lo, 5, v17
	v_cndmask_b32_e64 v17, 0, 1, s3
	s_delay_alu instid0(VALU_DEP_3) | instskip(SKIP_1) | instid1(VALU_DEP_2)
	v_and_or_b32 v3, 0x8000, v3, v15
	s_or_b32 vcc_lo, s0, vcc_lo
	v_lshl_or_b32 v17, v17, 9, 0x7c00
	s_wait_alu 0xfffe
	v_add_co_ci_u32_e32 v11, vcc_lo, 0, v11, vcc_lo
	v_cmp_gt_i32_e32 vcc_lo, 31, v5
	v_and_b32_e32 v3, 0xffff, v3
	s_wait_alu 0xfffd
	s_delay_alu instid0(VALU_DEP_3) | instskip(SKIP_2) | instid1(VALU_DEP_2)
	v_cndmask_b32_e32 v11, 0x7c00, v11, vcc_lo
	v_cmp_eq_u32_e32 vcc_lo, 0x40f, v5
	s_wait_alu 0xfffd
	v_cndmask_b32_e32 v5, v11, v17, vcc_lo
	v_add_co_u32 v23, vcc_lo, v20, s12
	s_wait_alu 0xfffd
	v_add_co_ci_u32_e32 v24, vcc_lo, s13, v21, vcc_lo
	s_delay_alu instid0(VALU_DEP_3) | instskip(NEXT) | instid1(VALU_DEP_1)
	v_and_or_b32 v4, 0x8000, v4, v5
	v_lshl_or_b32 v3, v4, 16, v3
	ds_load_2addr_b32 v[4:5], v148 offset0:120 offset1:220
	global_store_b32 v[20:21], v3, off
	s_wait_dscnt 0x0
	v_lshrrev_b32_e32 v22, 16, v5
	v_mul_f16_e32 v3, v35, v5
	s_delay_alu instid0(VALU_DEP_1) | instskip(NEXT) | instid1(VALU_DEP_1)
	v_fma_f16 v3, v31, v22, -v3
	v_cvt_f32_f16_e32 v3, v3
	s_delay_alu instid0(VALU_DEP_1) | instskip(NEXT) | instid1(VALU_DEP_1)
	v_cvt_f64_f32_e32 v[17:18], v3
	v_mul_f64_e32 v[17:18], s[10:11], v[17:18]
	s_delay_alu instid0(VALU_DEP_1) | instskip(SKIP_2) | instid1(VALU_DEP_3)
	v_and_or_b32 v3, 0x1ff, v18, v17
	v_lshrrev_b32_e32 v11, 8, v18
	v_bfe_u32 v20, v18, 20, 11
	v_cmp_ne_u32_e32 vcc_lo, 0, v3
	s_wait_alu 0xfffd
	v_cndmask_b32_e64 v3, 0, 1, vcc_lo
	s_delay_alu instid0(VALU_DEP_1) | instskip(SKIP_1) | instid1(VALU_DEP_2)
	v_and_or_b32 v3, 0xffe, v11, v3
	v_sub_nc_u32_e32 v11, 0x3f1, v20
	v_or_b32_e32 v15, 0x1000, v3
	s_delay_alu instid0(VALU_DEP_2) | instskip(NEXT) | instid1(VALU_DEP_1)
	v_med3_i32 v11, v11, 0, 13
	v_lshrrev_b32_e32 v21, v11, v15
	s_delay_alu instid0(VALU_DEP_1) | instskip(NEXT) | instid1(VALU_DEP_1)
	v_lshlrev_b32_e32 v11, v11, v21
	v_cmp_ne_u32_e64 s0, v11, v15
	v_mul_f16_e32 v11, v26, v25
	s_delay_alu instid0(VALU_DEP_1) | instskip(SKIP_2) | instid1(VALU_DEP_1)
	v_fmac_f16_e32 v11, v33, v7
	scratch_load_b32 v33, off, off offset:176 th:TH_LOAD_LU ; 4-byte Folded Reload
	v_cvt_f32_f16_e32 v7, v11
	v_cvt_f64_f32_e32 v[25:26], v7
	s_delay_alu instid0(VALU_DEP_1) | instskip(NEXT) | instid1(VALU_DEP_1)
	v_mul_f64_e32 v[25:26], s[10:11], v[25:26]
	v_and_or_b32 v7, 0x1ff, v26, v25
	v_lshrrev_b32_e32 v11, 8, v26
	s_delay_alu instid0(VALU_DEP_2) | instskip(SKIP_2) | instid1(VALU_DEP_1)
	v_cmp_ne_u32_e32 vcc_lo, 0, v7
	s_wait_alu 0xfffd
	v_cndmask_b32_e64 v7, 0, 1, vcc_lo
	v_and_or_b32 v7, 0xffe, v11, v7
	v_bfe_u32 v11, v26, 20, 11
	s_delay_alu instid0(VALU_DEP_2) | instskip(NEXT) | instid1(VALU_DEP_2)
	v_or_b32_e32 v17, 0x1000, v7
	v_sub_nc_u32_e32 v15, 0x3f1, v11
	v_add_nc_u32_e32 v11, 0xfffffc10, v11
	s_delay_alu instid0(VALU_DEP_2) | instskip(NEXT) | instid1(VALU_DEP_1)
	v_med3_i32 v15, v15, 0, 13
	v_lshrrev_b32_e32 v25, v15, v17
	s_delay_alu instid0(VALU_DEP_1) | instskip(NEXT) | instid1(VALU_DEP_1)
	v_lshlrev_b32_e32 v15, v15, v25
	v_cmp_ne_u32_e32 vcc_lo, v15, v17
	v_lshl_or_b32 v17, v11, 12, v7
	s_wait_alu 0xfffd
	v_cndmask_b32_e64 v15, 0, 1, vcc_lo
	v_cmp_gt_i32_e32 vcc_lo, 1, v11
	s_delay_alu instid0(VALU_DEP_2) | instskip(SKIP_1) | instid1(VALU_DEP_1)
	v_or_b32_e32 v15, v25, v15
	s_wait_alu 0xfffd
	v_cndmask_b32_e32 v15, v17, v15, vcc_lo
	s_delay_alu instid0(VALU_DEP_1) | instskip(SKIP_1) | instid1(VALU_DEP_2)
	v_and_b32_e32 v17, 7, v15
	v_lshrrev_b32_e32 v15, 2, v15
	v_cmp_lt_i32_e32 vcc_lo, 5, v17
	v_cmp_eq_u32_e64 s3, 3, v17
	v_cndmask_b32_e64 v17, 0, 1, s2
	v_cmp_ne_u32_e64 s2, 0, v7
	v_add_nc_u32_e32 v7, 0xfffffc10, v28
	s_delay_alu instid0(VALU_DEP_4) | instskip(NEXT) | instid1(VALU_DEP_3)
	s_or_b32 vcc_lo, s3, vcc_lo
	v_or_b32_e32 v17, v29, v17
	s_wait_alu 0xfffe
	v_add_co_ci_u32_e32 v15, vcc_lo, 0, v15, vcc_lo
	v_lshl_or_b32 v25, v7, 12, v27
	v_cmp_gt_i32_e64 s4, 1, v7
	v_cmp_gt_i32_e32 vcc_lo, 31, v11
	v_cmp_ne_u32_e64 s3, 0, v27
	s_wait_alu 0xf1ff
	s_delay_alu instid0(VALU_DEP_3) | instskip(SKIP_4) | instid1(VALU_DEP_3)
	v_cndmask_b32_e64 v17, v25, v17, s4
	v_cndmask_b32_e64 v25, 0, 1, s2
	s_wait_alu 0xfffd
	v_cndmask_b32_e32 v15, 0x7c00, v15, vcc_lo
	v_cmp_eq_u32_e32 vcc_lo, 0x40f, v11
	v_lshl_or_b32 v25, v25, 9, 0x7c00
	s_wait_alu 0xfffd
	s_delay_alu instid0(VALU_DEP_1) | instskip(SKIP_3) | instid1(VALU_DEP_3)
	v_cndmask_b32_e32 v11, v15, v25, vcc_lo
	v_and_b32_e32 v25, 7, v17
	v_lshrrev_b32_e32 v17, 2, v17
	v_lshrrev_b32_e32 v15, 16, v26
	v_cmp_lt_i32_e32 vcc_lo, 5, v25
	v_cmp_eq_u32_e64 s2, 3, v25
	v_cndmask_b32_e64 v25, 0, 1, s3
	s_delay_alu instid0(VALU_DEP_4) | instskip(NEXT) | instid1(VALU_DEP_3)
	v_and_or_b32 v11, 0x8000, v15, v11
	s_or_b32 vcc_lo, s2, vcc_lo
	s_delay_alu instid0(VALU_DEP_2)
	v_lshl_or_b32 v25, v25, 9, 0x7c00
	s_wait_alu 0xfffe
	v_add_co_ci_u32_e32 v17, vcc_lo, 0, v17, vcc_lo
	v_cmp_gt_i32_e32 vcc_lo, 31, v7
	v_and_b32_e32 v11, 0xffff, v11
	s_wait_alu 0xfffd
	s_delay_alu instid0(VALU_DEP_3) | instskip(SKIP_2) | instid1(VALU_DEP_2)
	v_cndmask_b32_e32 v17, 0x7c00, v17, vcc_lo
	v_cmp_eq_u32_e32 vcc_lo, 0x40f, v7
	s_wait_alu 0xfffd
	v_cndmask_b32_e32 v7, v17, v25, vcc_lo
	s_delay_alu instid0(VALU_DEP_1) | instskip(SKIP_3) | instid1(VALU_DEP_3)
	v_and_or_b32 v7, 0x8000, v14, v7
	v_add_co_u32 v14, vcc_lo, v23, s12
	s_wait_alu 0xfffd
	v_add_co_ci_u32_e32 v15, vcc_lo, s13, v24, vcc_lo
	v_lshl_or_b32 v7, v7, 16, v11
	global_store_b32 v[23:24], v7, off
	v_mul_f16_e32 v7, v30, v13
	s_delay_alu instid0(VALU_DEP_1) | instskip(SKIP_2) | instid1(VALU_DEP_1)
	v_fmac_f16_e32 v7, v32, v9
	scratch_load_b32 v32, off, off offset:184 th:TH_LOAD_LU ; 4-byte Folded Reload
	v_cvt_f32_f16_e32 v7, v7
	v_cvt_f64_f32_e32 v[23:24], v7
	s_delay_alu instid0(VALU_DEP_1) | instskip(NEXT) | instid1(VALU_DEP_1)
	v_mul_f64_e32 v[23:24], s[10:11], v[23:24]
	v_and_or_b32 v7, 0x1ff, v24, v23
	v_lshrrev_b32_e32 v9, 8, v24
	s_delay_alu instid0(VALU_DEP_2) | instskip(SKIP_2) | instid1(VALU_DEP_1)
	v_cmp_ne_u32_e32 vcc_lo, 0, v7
	s_wait_alu 0xfffd
	v_cndmask_b32_e64 v7, 0, 1, vcc_lo
	v_and_or_b32 v7, 0xffe, v9, v7
	v_bfe_u32 v9, v24, 20, 11
	s_delay_alu instid0(VALU_DEP_2) | instskip(NEXT) | instid1(VALU_DEP_2)
	v_or_b32_e32 v13, 0x1000, v7
	v_sub_nc_u32_e32 v11, 0x3f1, v9
	v_add_nc_u32_e32 v9, 0xfffffc10, v9
	s_delay_alu instid0(VALU_DEP_2) | instskip(NEXT) | instid1(VALU_DEP_1)
	v_med3_i32 v11, v11, 0, 13
	v_lshrrev_b32_e32 v17, v11, v13
	s_delay_alu instid0(VALU_DEP_1) | instskip(NEXT) | instid1(VALU_DEP_1)
	v_lshlrev_b32_e32 v11, v11, v17
	v_cmp_ne_u32_e32 vcc_lo, v11, v13
	v_lshl_or_b32 v13, v9, 12, v7
	s_wait_alu 0xfffd
	v_cndmask_b32_e64 v11, 0, 1, vcc_lo
	v_cmp_gt_i32_e32 vcc_lo, 1, v9
	s_delay_alu instid0(VALU_DEP_2) | instskip(SKIP_1) | instid1(VALU_DEP_1)
	v_or_b32_e32 v11, v17, v11
	s_wait_alu 0xfffd
	v_cndmask_b32_e32 v11, v13, v11, vcc_lo
	s_delay_alu instid0(VALU_DEP_1) | instskip(SKIP_1) | instid1(VALU_DEP_2)
	v_and_b32_e32 v13, 7, v11
	v_lshrrev_b32_e32 v11, 2, v11
	v_cmp_lt_i32_e32 vcc_lo, 5, v13
	v_cmp_eq_u32_e64 s2, 3, v13
	v_cndmask_b32_e64 v13, 0, 1, s1
	v_cmp_ne_u32_e64 s1, 0, v7
	v_add_nc_u32_e32 v7, 0xfffffc10, v16
	s_delay_alu instid0(VALU_DEP_4) | instskip(NEXT) | instid1(VALU_DEP_3)
	s_or_b32 vcc_lo, s2, vcc_lo
	v_or_b32_e32 v13, v19, v13
	s_wait_alu 0xfffe
	v_add_co_ci_u32_e32 v11, vcc_lo, 0, v11, vcc_lo
	v_lshl_or_b32 v16, v7, 12, v0
	v_cmp_gt_i32_e64 s3, 1, v7
	v_cmp_gt_i32_e32 vcc_lo, 31, v9
	v_cmp_ne_u32_e64 s2, 0, v0
	v_lshrrev_b32_e32 v0, 16, v24
	s_wait_alu 0xf1ff
	v_cndmask_b32_e64 v13, v16, v13, s3
	v_cndmask_b32_e64 v16, 0, 1, s1
	s_wait_alu 0xfffd
	v_cndmask_b32_e32 v11, 0x7c00, v11, vcc_lo
	v_cmp_eq_u32_e32 vcc_lo, 0x40f, v9
	s_delay_alu instid0(VALU_DEP_3) | instskip(SKIP_1) | instid1(VALU_DEP_1)
	v_lshl_or_b32 v16, v16, 9, 0x7c00
	s_wait_alu 0xfffd
	v_cndmask_b32_e32 v9, v11, v16, vcc_lo
	v_and_b32_e32 v11, 7, v13
	s_delay_alu instid0(VALU_DEP_2) | instskip(NEXT) | instid1(VALU_DEP_2)
	v_and_or_b32 v0, 0x8000, v0, v9
	v_cmp_lt_i32_e32 vcc_lo, 5, v11
	v_cmp_eq_u32_e64 s1, 3, v11
	v_lshrrev_b32_e32 v11, 2, v13
	v_cndmask_b32_e64 v13, 0, 1, s2
	v_and_b32_e32 v0, 0xffff, v0
	s_delay_alu instid0(VALU_DEP_4)
	s_or_b32 vcc_lo, s1, vcc_lo
	s_wait_alu 0xfffe
	v_add_co_ci_u32_e32 v11, vcc_lo, 0, v11, vcc_lo
	v_cmp_gt_i32_e32 vcc_lo, 31, v7
	v_lshl_or_b32 v13, v13, 9, 0x7c00
	s_wait_alu 0xfffd
	s_delay_alu instid0(VALU_DEP_3) | instskip(SKIP_2) | instid1(VALU_DEP_2)
	v_cndmask_b32_e32 v11, 0x7c00, v11, vcc_lo
	v_cmp_eq_u32_e32 vcc_lo, 0x40f, v7
	s_wait_alu 0xfffd
	v_cndmask_b32_e32 v7, v11, v13, vcc_lo
	v_add_co_u32 v25, vcc_lo, v14, s12
	s_wait_alu 0xfffd
	v_add_co_ci_u32_e32 v26, vcc_lo, s13, v15, vcc_lo
	s_delay_alu instid0(VALU_DEP_3) | instskip(NEXT) | instid1(VALU_DEP_1)
	v_and_or_b32 v1, 0x8000, v1, v7
	v_lshl_or_b32 v0, v1, 16, v0
	global_store_b32 v[14:15], v0, off
	ds_load_2addr_b32 v[14:15], v144 offset0:8 offset1:108
	s_wait_dscnt 0x0
	v_lshrrev_b32_e32 v9, 16, v14
	v_mul_f16_e32 v0, v34, v14
	s_wait_loadcnt 0x0
	s_delay_alu instid0(VALU_DEP_1) | instskip(NEXT) | instid1(VALU_DEP_1)
	v_fma_f16 v0, v32, v9, -v0
	v_cvt_f32_f16_e32 v0, v0
	s_delay_alu instid0(VALU_DEP_1) | instskip(NEXT) | instid1(VALU_DEP_1)
	v_cvt_f64_f32_e32 v[0:1], v0
	v_mul_f64_e32 v[27:28], s[10:11], v[0:1]
	s_delay_alu instid0(VALU_DEP_1) | instskip(SKIP_2) | instid1(VALU_DEP_3)
	v_and_or_b32 v0, 0x1ff, v28, v27
	v_lshrrev_b32_e32 v1, 8, v28
	v_bfe_u32 v29, v28, 20, 11
	v_cmp_ne_u32_e32 vcc_lo, 0, v0
	s_wait_alu 0xfffd
	v_cndmask_b32_e64 v0, 0, 1, vcc_lo
	s_delay_alu instid0(VALU_DEP_1) | instskip(SKIP_1) | instid1(VALU_DEP_2)
	v_and_or_b32 v27, 0xffe, v1, v0
	v_sub_nc_u32_e32 v0, 0x3f1, v29
	v_or_b32_e32 v1, 0x1000, v27
	s_delay_alu instid0(VALU_DEP_2) | instskip(NEXT) | instid1(VALU_DEP_1)
	v_med3_i32 v0, v0, 0, 13
	v_lshrrev_b32_e32 v30, v0, v1
	s_delay_alu instid0(VALU_DEP_1) | instskip(NEXT) | instid1(VALU_DEP_1)
	v_lshlrev_b32_e32 v0, v0, v30
	v_cmp_ne_u32_e64 s1, v0, v1
	ds_load_2addr_b32 v[0:1], v108 offset0:80 offset1:180
	s_wait_dscnt 0x0
	v_lshrrev_b32_e32 v7, 16, v1
	v_mul_f16_e32 v11, v37, v1
	s_delay_alu instid0(VALU_DEP_1) | instskip(SKIP_1) | instid1(VALU_DEP_2)
	v_fma_f16 v11, v33, v7, -v11
	v_mul_f16_e32 v7, v37, v7
	v_cvt_f32_f16_e32 v11, v11
	s_delay_alu instid0(VALU_DEP_2) | instskip(NEXT) | instid1(VALU_DEP_2)
	v_fmac_f16_e32 v7, v33, v1
	v_cvt_f64_f32_e32 v[16:17], v11
	s_delay_alu instid0(VALU_DEP_2) | instskip(NEXT) | instid1(VALU_DEP_2)
	v_cvt_f32_f16_e32 v1, v7
	v_mul_f64_e32 v[16:17], s[10:11], v[16:17]
	s_delay_alu instid0(VALU_DEP_1) | instskip(SKIP_2) | instid1(VALU_DEP_3)
	v_and_or_b32 v11, 0x1ff, v17, v16
	v_lshrrev_b32_e32 v13, 8, v17
	v_bfe_u32 v16, v17, 20, 11
	v_cmp_ne_u32_e32 vcc_lo, 0, v11
	s_wait_alu 0xfffd
	v_cndmask_b32_e64 v11, 0, 1, vcc_lo
	s_delay_alu instid0(VALU_DEP_1) | instskip(SKIP_2) | instid1(VALU_DEP_3)
	v_and_or_b32 v11, 0xffe, v13, v11
	v_sub_nc_u32_e32 v13, 0x3f1, v16
	v_add_nc_u32_e32 v16, 0xfffffc10, v16
	v_or_b32_e32 v19, 0x1000, v11
	s_delay_alu instid0(VALU_DEP_3) | instskip(NEXT) | instid1(VALU_DEP_1)
	v_med3_i32 v13, v13, 0, 13
	v_lshrrev_b32_e32 v24, v13, v19
	s_delay_alu instid0(VALU_DEP_1) | instskip(NEXT) | instid1(VALU_DEP_1)
	v_lshlrev_b32_e32 v13, v13, v24
	v_cmp_ne_u32_e32 vcc_lo, v13, v19
	v_mul_f16_e32 v13, v35, v22
	s_delay_alu instid0(VALU_DEP_1) | instskip(NEXT) | instid1(VALU_DEP_1)
	v_fmac_f16_e32 v13, v31, v5
	v_cvt_f32_f16_e32 v5, v13
	s_delay_alu instid0(VALU_DEP_1) | instskip(NEXT) | instid1(VALU_DEP_1)
	v_cvt_f64_f32_e32 v[22:23], v5
	v_mul_f64_e32 v[22:23], s[10:11], v[22:23]
	s_delay_alu instid0(VALU_DEP_1) | instskip(SKIP_1) | instid1(VALU_DEP_2)
	v_and_or_b32 v5, 0x1ff, v23, v22
	v_lshrrev_b32_e32 v13, 8, v23
	v_cmp_ne_u32_e64 s2, 0, v5
	s_wait_alu 0xf1ff
	s_delay_alu instid0(VALU_DEP_1) | instskip(NEXT) | instid1(VALU_DEP_1)
	v_cndmask_b32_e64 v5, 0, 1, s2
	v_and_or_b32 v5, 0xffe, v13, v5
	v_bfe_u32 v13, v23, 20, 11
	s_delay_alu instid0(VALU_DEP_2) | instskip(NEXT) | instid1(VALU_DEP_2)
	v_or_b32_e32 v22, 0x1000, v5
	v_sub_nc_u32_e32 v19, 0x3f1, v13
	v_add_nc_u32_e32 v13, 0xfffffc10, v13
	s_delay_alu instid0(VALU_DEP_2) | instskip(NEXT) | instid1(VALU_DEP_1)
	v_med3_i32 v19, v19, 0, 13
	v_lshrrev_b32_e32 v31, v19, v22
	s_delay_alu instid0(VALU_DEP_1) | instskip(NEXT) | instid1(VALU_DEP_1)
	v_lshlrev_b32_e32 v19, v19, v31
	v_cmp_ne_u32_e64 s2, v19, v22
	v_lshl_or_b32 v22, v13, 12, v5
	s_wait_alu 0xf1ff
	s_delay_alu instid0(VALU_DEP_2) | instskip(SKIP_1) | instid1(VALU_DEP_2)
	v_cndmask_b32_e64 v19, 0, 1, s2
	v_cmp_gt_i32_e64 s2, 1, v13
	v_or_b32_e32 v19, v31, v19
	s_wait_alu 0xf1ff
	s_delay_alu instid0(VALU_DEP_1) | instskip(NEXT) | instid1(VALU_DEP_1)
	v_cndmask_b32_e64 v19, v22, v19, s2
	v_and_b32_e32 v22, 7, v19
	v_lshrrev_b32_e32 v19, 2, v19
	s_delay_alu instid0(VALU_DEP_2) | instskip(SKIP_4) | instid1(VALU_DEP_4)
	v_cmp_lt_i32_e64 s2, 5, v22
	v_cmp_eq_u32_e64 s3, 3, v22
	v_cndmask_b32_e64 v22, 0, 1, s0
	v_cmp_ne_u32_e64 s0, 0, v5
	v_add_nc_u32_e32 v5, 0xfffffc10, v20
	s_or_b32 s2, s3, s2
	s_delay_alu instid0(VALU_DEP_3)
	v_or_b32_e32 v21, v21, v22
	s_wait_alu 0xfffe
	v_add_co_ci_u32_e64 v19, s2, 0, v19, s2
	v_lshl_or_b32 v20, v5, 12, v3
	v_cmp_gt_i32_e64 s4, 1, v5
	v_cmp_gt_i32_e64 s2, 31, v13
	v_cmp_ne_u32_e64 s3, 0, v3
	s_wait_alu 0xf1ff
	s_delay_alu instid0(VALU_DEP_3) | instskip(SKIP_3) | instid1(VALU_DEP_4)
	v_cndmask_b32_e64 v20, v20, v21, s4
	v_cndmask_b32_e64 v21, 0, 1, s0
	;; [unrolled: 1-line block ×3, first 2 shown]
	v_cmp_eq_u32_e64 s0, 0x40f, v13
	v_lshrrev_b32_e32 v3, 2, v20
	s_delay_alu instid0(VALU_DEP_4) | instskip(SKIP_1) | instid1(VALU_DEP_1)
	v_lshl_or_b32 v21, v21, 9, 0x7c00
	s_wait_alu 0xf1ff
	v_cndmask_b32_e64 v13, v19, v21, s0
	v_and_b32_e32 v21, 7, v20
	v_cndmask_b32_e64 v20, 0, 1, s3
	v_lshrrev_b32_e32 v19, 16, v23
	s_delay_alu instid0(VALU_DEP_3) | instskip(SKIP_1) | instid1(VALU_DEP_4)
	v_cmp_lt_i32_e64 s0, 5, v21
	v_cmp_eq_u32_e64 s2, 3, v21
	v_lshl_or_b32 v20, v20, 9, 0x7c00
	s_delay_alu instid0(VALU_DEP_4) | instskip(NEXT) | instid1(VALU_DEP_3)
	v_and_or_b32 v13, 0x8000, v19, v13
	s_or_b32 s0, s2, s0
	s_wait_alu 0xfffe
	v_add_co_ci_u32_e64 v3, s0, 0, v3, s0
	v_cmp_gt_i32_e64 s0, 31, v5
	s_wait_alu 0xf1ff
	s_delay_alu instid0(VALU_DEP_1) | instskip(SKIP_3) | instid1(VALU_DEP_2)
	v_cndmask_b32_e64 v3, 0x7c00, v3, s0
	v_cmp_eq_u32_e64 s0, 0x40f, v5
	v_lshrrev_b32_e32 v5, 16, v18
	s_wait_alu 0xf1ff
	v_cndmask_b32_e64 v3, v3, v20, s0
	v_add_co_u32 v18, s0, v25, s12
	s_wait_alu 0xf1ff
	v_add_co_ci_u32_e64 v19, s0, s13, v26, s0
	s_delay_alu instid0(VALU_DEP_3) | instskip(SKIP_1) | instid1(VALU_DEP_1)
	v_and_or_b32 v3, 0x8000, v5, v3
	v_and_b32_e32 v5, 0xffff, v13
	v_lshl_or_b32 v3, v3, 16, v5
	global_store_b32 v[25:26], v3, off
	v_mul_f16_e32 v3, v34, v9
	s_delay_alu instid0(VALU_DEP_1) | instskip(NEXT) | instid1(VALU_DEP_1)
	v_fmac_f16_e32 v3, v32, v14
	v_cvt_f32_f16_e32 v3, v3
	s_delay_alu instid0(VALU_DEP_1) | instskip(NEXT) | instid1(VALU_DEP_1)
	v_cvt_f64_f32_e32 v[13:14], v3
	v_mul_f64_e32 v[13:14], s[10:11], v[13:14]
	s_delay_alu instid0(VALU_DEP_1) | instskip(SKIP_1) | instid1(VALU_DEP_2)
	v_and_or_b32 v3, 0x1ff, v14, v13
	v_lshrrev_b32_e32 v5, 8, v14
	v_cmp_ne_u32_e64 s0, 0, v3
	s_wait_alu 0xf1ff
	s_delay_alu instid0(VALU_DEP_1) | instskip(NEXT) | instid1(VALU_DEP_1)
	v_cndmask_b32_e64 v3, 0, 1, s0
	v_and_or_b32 v3, 0xffe, v5, v3
	v_bfe_u32 v5, v14, 20, 11
	s_delay_alu instid0(VALU_DEP_2) | instskip(NEXT) | instid1(VALU_DEP_2)
	v_or_b32_e32 v13, 0x1000, v3
	v_sub_nc_u32_e32 v9, 0x3f1, v5
	v_add_nc_u32_e32 v5, 0xfffffc10, v5
	v_cmp_ne_u32_e64 s2, 0, v3
	s_delay_alu instid0(VALU_DEP_3) | instskip(NEXT) | instid1(VALU_DEP_1)
	v_med3_i32 v9, v9, 0, 13
	v_lshrrev_b32_e32 v20, v9, v13
	s_delay_alu instid0(VALU_DEP_1) | instskip(NEXT) | instid1(VALU_DEP_1)
	v_lshlrev_b32_e32 v9, v9, v20
	v_cmp_ne_u32_e64 s0, v9, v13
	v_lshl_or_b32 v13, v5, 12, v3
	s_wait_alu 0xf1ff
	s_delay_alu instid0(VALU_DEP_2) | instskip(SKIP_1) | instid1(VALU_DEP_2)
	v_cndmask_b32_e64 v9, 0, 1, s0
	v_cmp_gt_i32_e64 s0, 1, v5
	v_or_b32_e32 v9, v20, v9
	v_add_nc_u32_e32 v20, 0xfffffc10, v29
	s_wait_alu 0xf1ff
	s_delay_alu instid0(VALU_DEP_2) | instskip(SKIP_1) | instid1(VALU_DEP_3)
	v_cndmask_b32_e64 v9, v13, v9, s0
	v_cndmask_b32_e64 v13, 0, 1, s1
	v_lshl_or_b32 v21, v20, 12, v27
	v_cmp_gt_i32_e64 s0, 1, v20
	s_delay_alu instid0(VALU_DEP_3) | instskip(SKIP_1) | instid1(VALU_DEP_1)
	v_or_b32_e32 v13, v30, v13
	s_wait_alu 0xf1ff
	v_cndmask_b32_e64 v13, v21, v13, s0
	v_and_b32_e32 v21, 7, v9
	s_delay_alu instid0(VALU_DEP_2) | instskip(NEXT) | instid1(VALU_DEP_2)
	v_and_b32_e32 v3, 7, v13
	v_cmp_lt_i32_e64 s0, 5, v21
	v_cmp_eq_u32_e64 s1, 3, v21
	s_delay_alu instid0(VALU_DEP_3) | instskip(SKIP_2) | instid1(VALU_DEP_4)
	v_cmp_lt_i32_e64 s3, 5, v3
	v_cmp_eq_u32_e64 s4, 3, v3
	v_lshrrev_b32_e32 v3, 2, v9
	s_or_b32 s0, s1, s0
	v_cndmask_b32_e64 v9, 0, 1, s2
	s_delay_alu instid0(VALU_DEP_3)
	s_or_b32 s1, s4, s3
	s_wait_alu 0xfffe
	v_add_co_ci_u32_e64 v3, s0, 0, v3, s0
	v_cmp_gt_i32_e64 s0, 31, v5
	v_lshl_or_b32 v9, v9, 9, 0x7c00
	s_wait_alu 0xf1ff
	s_delay_alu instid0(VALU_DEP_2) | instskip(SKIP_3) | instid1(VALU_DEP_2)
	v_cndmask_b32_e64 v3, 0x7c00, v3, s0
	v_cmp_eq_u32_e64 s0, 0x40f, v5
	v_lshrrev_b32_e32 v5, 16, v14
	s_wait_alu 0xf1ff
	v_cndmask_b32_e64 v3, v3, v9, s0
	v_lshrrev_b32_e32 v9, 2, v13
	v_cmp_ne_u32_e64 s0, 0, v27
	s_delay_alu instid0(VALU_DEP_3) | instskip(NEXT) | instid1(VALU_DEP_3)
	v_and_or_b32 v3, 0x8000, v5, v3
	v_add_co_ci_u32_e64 v9, s1, 0, v9, s1
	v_cmp_gt_i32_e64 s1, 31, v20
	s_wait_alu 0xf1ff
	v_cndmask_b32_e64 v13, 0, 1, s0
	v_cmp_eq_u32_e64 s0, 0x40f, v20
	v_and_b32_e32 v3, 0xffff, v3
	v_cndmask_b32_e64 v9, 0x7c00, v9, s1
	s_delay_alu instid0(VALU_DEP_4) | instskip(SKIP_1) | instid1(VALU_DEP_1)
	v_lshl_or_b32 v13, v13, 9, 0x7c00
	s_wait_alu 0xf1ff
	v_cndmask_b32_e64 v9, v9, v13, s0
	v_lshrrev_b32_e32 v13, 16, v28
	v_add_co_u32 v28, s0, v18, s12
	s_wait_alu 0xf1ff
	v_add_co_ci_u32_e64 v29, s0, s13, v19, s0
	s_delay_alu instid0(VALU_DEP_3)
	v_and_or_b32 v5, 0x8000, v13, v9
	ds_load_2addr_b32 v[13:14], v117 offset0:96 offset1:196
	v_lshl_or_b32 v3, v5, 16, v3
	global_store_b32 v[18:19], v3, off
	s_wait_dscnt 0x0
	v_lshrrev_b32_e32 v5, 16, v13
	v_mul_f16_e32 v3, v41, v13
	s_delay_alu instid0(VALU_DEP_1) | instskip(NEXT) | instid1(VALU_DEP_1)
	v_fma_f16 v3, v38, v5, -v3
	v_cvt_f32_f16_e32 v3, v3
	s_delay_alu instid0(VALU_DEP_1) | instskip(NEXT) | instid1(VALU_DEP_1)
	v_cvt_f64_f32_e32 v[18:19], v3
	v_mul_f64_e32 v[30:31], s[10:11], v[18:19]
	scratch_load_b32 v18, off, off offset:160 th:TH_LOAD_LU ; 4-byte Folded Reload
	v_and_or_b32 v3, 0x1ff, v31, v30
	v_lshrrev_b32_e32 v9, 8, v31
	v_bfe_u32 v34, v31, 20, 11
	s_delay_alu instid0(VALU_DEP_3) | instskip(SKIP_1) | instid1(VALU_DEP_1)
	v_cmp_ne_u32_e64 s0, 0, v3
	s_wait_alu 0xf1ff
	v_cndmask_b32_e64 v3, 0, 1, s0
	s_delay_alu instid0(VALU_DEP_1) | instskip(SKIP_1) | instid1(VALU_DEP_2)
	v_and_or_b32 v30, 0xffe, v9, v3
	v_sub_nc_u32_e32 v3, 0x3f1, v34
	v_or_b32_e32 v9, 0x1000, v30
	s_delay_alu instid0(VALU_DEP_2) | instskip(NEXT) | instid1(VALU_DEP_1)
	v_med3_i32 v3, v3, 0, 13
	v_lshrrev_b32_e32 v35, v3, v9
	s_delay_alu instid0(VALU_DEP_1) | instskip(NEXT) | instid1(VALU_DEP_1)
	v_lshlrev_b32_e32 v3, v3, v35
	v_cmp_ne_u32_e64 s3, v3, v9
	scratch_load_b32 v9, off, off offset:164 th:TH_LOAD_LU ; 4-byte Folded Reload
	v_lshrrev_b32_e32 v3, 16, v2
	s_wait_loadcnt 0x0
	s_delay_alu instid0(VALU_DEP_1) | instskip(SKIP_1) | instid1(VALU_DEP_2)
	v_mul_f16_e32 v20, v9, v3
	v_mul_f16_e32 v9, v9, v2
	v_fmac_f16_e32 v20, v18, v2
	s_delay_alu instid0(VALU_DEP_2) | instskip(SKIP_4) | instid1(VALU_DEP_1)
	v_fma_f16 v36, v18, v3, -v9
	ds_load_2addr_b32 v[2:3], v159 offset0:40 offset1:140
	s_wait_dscnt 0x0
	v_lshrrev_b32_e32 v27, 16, v3
	v_mul_f16_e32 v9, v40, v3
	v_fma_f16 v9, v39, v27, -v9
	v_mul_f16_e32 v27, v40, v27
	scratch_load_b32 v40, off, off offset:76 th:TH_LOAD_LU ; 4-byte Folded Reload
	v_cvt_f32_f16_e32 v9, v9
	v_fmac_f16_e32 v27, v39, v3
	scratch_load_b32 v39, off, off offset:72 th:TH_LOAD_LU ; 4-byte Folded Reload
	v_cvt_f64_f32_e32 v[18:19], v9
	v_cvt_f32_f16_e32 v3, v27
	s_delay_alu instid0(VALU_DEP_2) | instskip(NEXT) | instid1(VALU_DEP_1)
	v_mul_f64_e32 v[18:19], s[10:11], v[18:19]
	v_and_or_b32 v9, 0x1ff, v19, v18
	v_lshrrev_b32_e32 v18, 8, v19
	v_bfe_u32 v22, v19, 20, 11
	v_lshrrev_b32_e32 v19, 16, v19
	s_delay_alu instid0(VALU_DEP_4) | instskip(SKIP_1) | instid1(VALU_DEP_1)
	v_cmp_ne_u32_e64 s0, 0, v9
	s_wait_alu 0xf1ff
	v_cndmask_b32_e64 v9, 0, 1, s0
	s_delay_alu instid0(VALU_DEP_1) | instskip(SKIP_2) | instid1(VALU_DEP_3)
	v_and_or_b32 v9, 0xffe, v18, v9
	v_sub_nc_u32_e32 v18, 0x3f1, v22
	v_add_nc_u32_e32 v22, 0xfffffc10, v22
	v_or_b32_e32 v21, 0x1000, v9
	s_delay_alu instid0(VALU_DEP_3) | instskip(NEXT) | instid1(VALU_DEP_1)
	v_med3_i32 v18, v18, 0, 13
	v_lshrrev_b32_e32 v23, v18, v21
	s_delay_alu instid0(VALU_DEP_1) | instskip(NEXT) | instid1(VALU_DEP_1)
	v_lshlrev_b32_e32 v18, v18, v23
	v_cmp_ne_u32_e64 s0, v18, v21
	v_cvt_f32_f16_e32 v18, v20
	s_delay_alu instid0(VALU_DEP_1) | instskip(NEXT) | instid1(VALU_DEP_1)
	v_cvt_f64_f32_e32 v[20:21], v18
	v_mul_f64_e32 v[20:21], s[10:11], v[20:21]
	s_delay_alu instid0(VALU_DEP_1) | instskip(SKIP_3) | instid1(VALU_DEP_4)
	v_and_or_b32 v18, 0x1ff, v21, v20
	v_lshrrev_b32_e32 v20, 8, v21
	v_bfe_u32 v25, v21, 20, 11
	v_lshrrev_b32_e32 v21, 16, v21
	v_cmp_ne_u32_e64 s1, 0, v18
	s_wait_alu 0xf1ff
	s_delay_alu instid0(VALU_DEP_1) | instskip(NEXT) | instid1(VALU_DEP_1)
	v_cndmask_b32_e64 v18, 0, 1, s1
	v_and_or_b32 v20, 0xffe, v20, v18
	v_sub_nc_u32_e32 v18, 0x3f1, v25
	s_delay_alu instid0(VALU_DEP_2) | instskip(NEXT) | instid1(VALU_DEP_2)
	v_or_b32_e32 v32, 0x1000, v20
	v_med3_i32 v18, v18, 0, 13
	s_delay_alu instid0(VALU_DEP_1) | instskip(NEXT) | instid1(VALU_DEP_1)
	v_lshrrev_b32_e32 v26, v18, v32
	v_lshlrev_b32_e32 v18, v18, v26
	s_delay_alu instid0(VALU_DEP_1) | instskip(SKIP_1) | instid1(VALU_DEP_1)
	v_cmp_ne_u32_e64 s1, v18, v32
	v_cvt_f64_f32_e32 v[32:33], v1
	v_mul_f64_e32 v[32:33], s[10:11], v[32:33]
	s_delay_alu instid0(VALU_DEP_1) | instskip(SKIP_1) | instid1(VALU_DEP_2)
	v_and_or_b32 v1, 0x1ff, v33, v32
	v_lshrrev_b32_e32 v7, 8, v33
	v_cmp_ne_u32_e64 s2, 0, v1
	s_wait_alu 0xf1ff
	s_delay_alu instid0(VALU_DEP_1) | instskip(NEXT) | instid1(VALU_DEP_1)
	v_cndmask_b32_e64 v1, 0, 1, s2
	v_and_or_b32 v1, 0xffe, v7, v1
	v_bfe_u32 v7, v33, 20, 11
	s_delay_alu instid0(VALU_DEP_2) | instskip(NEXT) | instid1(VALU_DEP_2)
	v_or_b32_e32 v32, 0x1000, v1
	v_sub_nc_u32_e32 v18, 0x3f1, v7
	v_add_nc_u32_e32 v7, 0xfffffc10, v7
	v_cmp_ne_u32_e64 s5, 0, v1
	s_delay_alu instid0(VALU_DEP_3) | instskip(NEXT) | instid1(VALU_DEP_1)
	v_med3_i32 v18, v18, 0, 13
	v_lshrrev_b32_e32 v37, v18, v32
	s_delay_alu instid0(VALU_DEP_1) | instskip(NEXT) | instid1(VALU_DEP_1)
	v_lshlrev_b32_e32 v18, v18, v37
	v_cmp_ne_u32_e64 s2, v18, v32
	v_lshl_or_b32 v32, v7, 12, v1
	s_wait_alu 0xfffd
	v_cndmask_b32_e64 v1, 0, 1, vcc_lo
	v_cmp_gt_i32_e32 vcc_lo, 1, v16
	s_wait_alu 0xf1ff
	v_cndmask_b32_e64 v18, 0, 1, s2
	v_cmp_gt_i32_e64 s2, 1, v7
	v_or_b32_e32 v1, v24, v1
	v_lshl_or_b32 v24, v16, 12, v11
	s_delay_alu instid0(VALU_DEP_4)
	v_or_b32_e32 v18, v37, v18
	scratch_load_b32 v37, off, off offset:136 th:TH_LOAD_LU ; 4-byte Folded Reload
	s_wait_alu 0xfffd
	v_cndmask_b32_e32 v1, v24, v1, vcc_lo
	v_cndmask_b32_e64 v24, 0, 1, s5
	s_wait_alu 0xf1ff
	v_cndmask_b32_e64 v18, v32, v18, s2
	s_delay_alu instid0(VALU_DEP_2) | instskip(NEXT) | instid1(VALU_DEP_2)
	v_lshl_or_b32 v24, v24, 9, 0x7c00
	v_and_b32_e32 v32, 7, v18
	v_lshrrev_b32_e32 v18, 2, v18
	s_delay_alu instid0(VALU_DEP_2) | instskip(SKIP_1) | instid1(VALU_DEP_1)
	v_cmp_lt_i32_e64 s2, 5, v32
	v_cmp_eq_u32_e64 s4, 3, v32
	s_or_b32 vcc_lo, s4, s2
	v_cmp_ne_u32_e64 s4, 0, v11
	s_wait_alu 0xfffe
	v_add_co_ci_u32_e32 v18, vcc_lo, 0, v18, vcc_lo
	v_cmp_gt_i32_e32 vcc_lo, 31, v7
	s_wait_alu 0xf1ff
	v_cndmask_b32_e64 v11, 0, 1, s4
	s_wait_alu 0xfffd
	v_cndmask_b32_e32 v18, 0x7c00, v18, vcc_lo
	v_cmp_eq_u32_e32 vcc_lo, 0x40f, v7
	s_delay_alu instid0(VALU_DEP_3) | instskip(SKIP_1) | instid1(VALU_DEP_3)
	v_lshl_or_b32 v11, v11, 9, 0x7c00
	s_wait_alu 0xfffd
	v_dual_cndmask_b32 v7, v18, v24 :: v_dual_and_b32 v24, 7, v1
	v_lshrrev_b32_e32 v1, 2, v1
	v_lshrrev_b32_e32 v18, 16, v33
	s_delay_alu instid0(VALU_DEP_3) | instskip(SKIP_1) | instid1(VALU_DEP_3)
	v_cmp_lt_i32_e32 vcc_lo, 5, v24
	v_cmp_eq_u32_e64 s2, 3, v24
	v_and_or_b32 v7, 0x8000, v18, v7
	s_delay_alu instid0(VALU_DEP_2) | instskip(NEXT) | instid1(VALU_DEP_1)
	s_or_b32 vcc_lo, s2, vcc_lo
	v_and_b32_e32 v7, 0xffff, v7
	s_wait_alu 0xfffe
	v_add_co_ci_u32_e32 v1, vcc_lo, 0, v1, vcc_lo
	v_cmp_gt_i32_e32 vcc_lo, 31, v16
	s_wait_alu 0xfffd
	s_delay_alu instid0(VALU_DEP_2) | instskip(SKIP_2) | instid1(VALU_DEP_2)
	v_cndmask_b32_e32 v1, 0x7c00, v1, vcc_lo
	v_cmp_eq_u32_e32 vcc_lo, 0x40f, v16
	s_wait_alu 0xfffd
	v_cndmask_b32_e32 v1, v1, v11, vcc_lo
	v_lshrrev_b32_e32 v11, 16, v17
	s_delay_alu instid0(VALU_DEP_1) | instskip(NEXT) | instid1(VALU_DEP_1)
	v_and_or_b32 v1, 0x8000, v11, v1
	v_lshl_or_b32 v1, v1, 16, v7
	global_store_b32 v[28:29], v1, off
	v_cvt_f32_f16_e32 v1, v36
	v_add_co_u32 v28, vcc_lo, v28, s12
	s_wait_alu 0xfffd
	v_add_co_ci_u32_e32 v29, vcc_lo, s13, v29, vcc_lo
	s_delay_alu instid0(VALU_DEP_3) | instskip(NEXT) | instid1(VALU_DEP_1)
	v_cvt_f64_f32_e32 v[16:17], v1
	v_mul_f64_e32 v[17:18], s[10:11], v[16:17]
	s_delay_alu instid0(VALU_DEP_1) | instskip(SKIP_3) | instid1(VALU_DEP_4)
	v_and_or_b32 v1, 0x1ff, v18, v17
	v_lshrrev_b32_e32 v7, 8, v18
	v_bfe_u32 v33, v18, 20, 11
	v_lshrrev_b32_e32 v18, 16, v18
	v_cmp_ne_u32_e32 vcc_lo, 0, v1
	s_wait_alu 0xfffd
	v_cndmask_b32_e64 v1, 0, 1, vcc_lo
	s_delay_alu instid0(VALU_DEP_1) | instskip(SKIP_1) | instid1(VALU_DEP_2)
	v_and_or_b32 v32, 0xffe, v7, v1
	v_sub_nc_u32_e32 v1, 0x3f1, v33
	v_or_b32_e32 v7, 0x1000, v32
	s_delay_alu instid0(VALU_DEP_2) | instskip(NEXT) | instid1(VALU_DEP_1)
	v_med3_i32 v1, v1, 0, 13
	v_lshrrev_b32_e32 v36, v1, v7
	s_delay_alu instid0(VALU_DEP_1) | instskip(NEXT) | instid1(VALU_DEP_1)
	v_lshlrev_b32_e32 v1, v1, v36
	v_cmp_ne_u32_e64 s2, v1, v7
	v_mul_f16_e32 v1, v41, v5
	s_delay_alu instid0(VALU_DEP_1) | instskip(SKIP_2) | instid1(VALU_DEP_1)
	v_fmac_f16_e32 v1, v38, v13
	scratch_load_b32 v38, off, off offset:140 th:TH_LOAD_LU ; 4-byte Folded Reload
	v_cvt_f32_f16_e32 v1, v1
	v_cvt_f64_f32_e32 v[16:17], v1
	s_delay_alu instid0(VALU_DEP_1) | instskip(NEXT) | instid1(VALU_DEP_1)
	v_mul_f64_e32 v[16:17], s[10:11], v[16:17]
	v_and_or_b32 v1, 0x1ff, v17, v16
	v_lshrrev_b32_e32 v5, 8, v17
	s_delay_alu instid0(VALU_DEP_2) | instskip(SKIP_2) | instid1(VALU_DEP_1)
	v_cmp_ne_u32_e32 vcc_lo, 0, v1
	s_wait_alu 0xfffd
	v_cndmask_b32_e64 v1, 0, 1, vcc_lo
	v_and_or_b32 v1, 0xffe, v5, v1
	v_bfe_u32 v5, v17, 20, 11
	s_delay_alu instid0(VALU_DEP_2) | instskip(NEXT) | instid1(VALU_DEP_2)
	v_or_b32_e32 v11, 0x1000, v1
	v_sub_nc_u32_e32 v7, 0x3f1, v5
	v_add_nc_u32_e32 v5, 0xfffffc10, v5
	v_cmp_ne_u32_e64 s5, 0, v1
	s_delay_alu instid0(VALU_DEP_3) | instskip(NEXT) | instid1(VALU_DEP_1)
	v_med3_i32 v7, v7, 0, 13
	v_lshrrev_b32_e32 v13, v7, v11
	s_delay_alu instid0(VALU_DEP_1) | instskip(NEXT) | instid1(VALU_DEP_1)
	v_lshlrev_b32_e32 v7, v7, v13
	v_cmp_ne_u32_e32 vcc_lo, v7, v11
	v_lshl_or_b32 v11, v5, 12, v1
	v_cndmask_b32_e64 v1, 0, 1, s3
	s_wait_alu 0xfffd
	v_cndmask_b32_e64 v7, 0, 1, vcc_lo
	v_cmp_gt_i32_e32 vcc_lo, 1, v5
	s_delay_alu instid0(VALU_DEP_3) | instskip(NEXT) | instid1(VALU_DEP_3)
	v_or_b32_e32 v1, v35, v1
	v_or_b32_e32 v7, v13, v7
	s_wait_alu 0xfffd
	s_delay_alu instid0(VALU_DEP_1) | instskip(NEXT) | instid1(VALU_DEP_1)
	v_cndmask_b32_e32 v7, v11, v7, vcc_lo
	v_and_b32_e32 v11, 7, v7
	v_lshrrev_b32_e32 v7, 2, v7
	s_delay_alu instid0(VALU_DEP_2) | instskip(SKIP_2) | instid1(VALU_DEP_2)
	v_cmp_lt_i32_e32 vcc_lo, 5, v11
	v_cmp_eq_u32_e64 s4, 3, v11
	v_add_nc_u32_e32 v11, 0xfffffc10, v34
	s_or_b32 vcc_lo, s4, vcc_lo
	s_delay_alu instid0(VALU_DEP_1)
	v_lshl_or_b32 v13, v11, 12, v30
	v_cmp_gt_i32_e64 s3, 1, v11
	s_wait_alu 0xfffe
	v_add_co_ci_u32_e32 v7, vcc_lo, 0, v7, vcc_lo
	v_cmp_gt_i32_e32 vcc_lo, 31, v5
	v_cmp_ne_u32_e64 s4, 0, v30
	s_wait_alu 0xf1ff
	v_cndmask_b32_e64 v1, v13, v1, s3
	v_cndmask_b32_e64 v13, 0, 1, s5
	s_wait_alu 0xfffd
	v_cndmask_b32_e32 v7, 0x7c00, v7, vcc_lo
	v_cmp_eq_u32_e32 vcc_lo, 0x40f, v5
	s_delay_alu instid0(VALU_DEP_3) | instskip(SKIP_1) | instid1(VALU_DEP_1)
	v_lshl_or_b32 v13, v13, 9, 0x7c00
	s_wait_alu 0xfffd
	v_cndmask_b32_e32 v5, v7, v13, vcc_lo
	v_and_b32_e32 v13, 7, v1
	v_lshrrev_b32_e32 v1, 2, v1
	v_lshrrev_b32_e32 v7, 16, v17
	s_delay_alu instid0(VALU_DEP_3) | instskip(SKIP_2) | instid1(VALU_DEP_4)
	v_cmp_lt_i32_e32 vcc_lo, 5, v13
	v_cmp_eq_u32_e64 s3, 3, v13
	v_cndmask_b32_e64 v13, 0, 1, s4
	v_and_or_b32 v5, 0x8000, v7, v5
	scratch_load_b32 v7, off, off offset:148 th:TH_LOAD_LU ; 4-byte Folded Reload
	s_or_b32 vcc_lo, s3, vcc_lo
	v_lshl_or_b32 v13, v13, 9, 0x7c00
	s_wait_alu 0xfffe
	v_add_co_ci_u32_e32 v1, vcc_lo, 0, v1, vcc_lo
	v_cmp_gt_i32_e32 vcc_lo, 31, v11
	v_and_b32_e32 v5, 0xffff, v5
	s_wait_alu 0xfffd
	s_delay_alu instid0(VALU_DEP_3) | instskip(SKIP_3) | instid1(VALU_DEP_3)
	v_cndmask_b32_e32 v1, 0x7c00, v1, vcc_lo
	v_cmp_eq_u32_e32 vcc_lo, 0x40f, v11
	v_lshrrev_b32_e32 v11, 16, v31
	s_wait_alu 0xfffd
	v_cndmask_b32_e32 v1, v1, v13, vcc_lo
	s_delay_alu instid0(VALU_DEP_1)
	v_and_or_b32 v1, 0x8000, v11, v1
	scratch_load_b32 v11, off, off offset:144 th:TH_LOAD_LU ; 4-byte Folded Reload
	v_lshl_or_b32 v1, v1, 16, v5
	global_store_b32 v[28:29], v1, off
	v_lshrrev_b32_e32 v1, 16, v12
	v_add_co_u32 v28, vcc_lo, v28, s12
	s_wait_alu 0xfffd
	v_add_co_ci_u32_e32 v29, vcc_lo, s13, v29, vcc_lo
	s_wait_loadcnt 0x1
	v_mul_f16_e32 v5, v7, v1
	v_mul_f16_e32 v7, v7, v12
	s_wait_loadcnt 0x0
	s_delay_alu instid0(VALU_DEP_2) | instskip(NEXT) | instid1(VALU_DEP_2)
	v_fmac_f16_e32 v5, v11, v12
	v_fma_f16 v24, v11, v1, -v7
	ds_load_2addr_b32 v[11:12], v127 offset0:144 offset1:244
	v_cvt_f32_f16_e32 v5, v5
	s_wait_dscnt 0x0
	v_lshrrev_b32_e32 v13, 16, v11
	v_mul_f16_e32 v1, v38, v11
	s_delay_alu instid0(VALU_DEP_1) | instskip(NEXT) | instid1(VALU_DEP_1)
	v_fma_f16 v1, v37, v13, -v1
	v_cvt_f32_f16_e32 v1, v1
	s_delay_alu instid0(VALU_DEP_1) | instskip(NEXT) | instid1(VALU_DEP_1)
	v_cvt_f64_f32_e32 v[16:17], v1
	v_mul_f64_e32 v[16:17], s[10:11], v[16:17]
	s_delay_alu instid0(VALU_DEP_1) | instskip(SKIP_1) | instid1(VALU_DEP_2)
	v_and_or_b32 v1, 0x1ff, v17, v16
	v_lshrrev_b32_e32 v7, 8, v17
	v_cmp_ne_u32_e32 vcc_lo, 0, v1
	s_wait_alu 0xfffd
	v_cndmask_b32_e64 v1, 0, 1, vcc_lo
	s_delay_alu instid0(VALU_DEP_1) | instskip(SKIP_1) | instid1(VALU_DEP_2)
	v_and_or_b32 v1, 0xffe, v7, v1
	v_bfe_u32 v7, v17, 20, 11
	v_or_b32_e32 v31, 0x1000, v1
	s_delay_alu instid0(VALU_DEP_2) | instskip(SKIP_1) | instid1(VALU_DEP_2)
	v_sub_nc_u32_e32 v16, 0x3f1, v7
	v_add_nc_u32_e32 v7, 0xfffffc10, v7
	v_med3_i32 v30, v16, 0, 13
	s_delay_alu instid0(VALU_DEP_1) | instskip(NEXT) | instid1(VALU_DEP_1)
	v_lshrrev_b32_e32 v16, v30, v31
	v_lshlrev_b32_e32 v30, v30, v16
	s_delay_alu instid0(VALU_DEP_1) | instskip(SKIP_1) | instid1(VALU_DEP_1)
	v_cmp_ne_u32_e32 vcc_lo, v30, v31
	v_cvt_f64_f32_e32 v[30:31], v3
	v_mul_f64_e32 v[30:31], s[10:11], v[30:31]
	s_delay_alu instid0(VALU_DEP_1) | instskip(SKIP_1) | instid1(VALU_DEP_2)
	v_and_or_b32 v3, 0x1ff, v31, v30
	v_lshrrev_b32_e32 v27, 8, v31
	v_cmp_ne_u32_e64 s3, 0, v3
	s_wait_alu 0xf1ff
	s_delay_alu instid0(VALU_DEP_1) | instskip(NEXT) | instid1(VALU_DEP_1)
	v_cndmask_b32_e64 v3, 0, 1, s3
	v_and_or_b32 v3, 0xffe, v27, v3
	v_bfe_u32 v27, v31, 20, 11
	s_delay_alu instid0(VALU_DEP_2) | instskip(NEXT) | instid1(VALU_DEP_2)
	v_or_b32_e32 v34, 0x1000, v3
	v_sub_nc_u32_e32 v30, 0x3f1, v27
	v_add_nc_u32_e32 v27, 0xfffffc10, v27
	v_cmp_ne_u32_e64 s5, 0, v3
	s_delay_alu instid0(VALU_DEP_3) | instskip(NEXT) | instid1(VALU_DEP_1)
	v_med3_i32 v30, v30, 0, 13
	v_lshrrev_b32_e32 v35, v30, v34
	s_delay_alu instid0(VALU_DEP_1) | instskip(NEXT) | instid1(VALU_DEP_1)
	v_lshlrev_b32_e32 v30, v30, v35
	v_cmp_ne_u32_e64 s3, v30, v34
	v_lshl_or_b32 v34, v27, 12, v3
	v_cndmask_b32_e64 v3, 0, 1, s0
	v_cmp_gt_i32_e64 s0, 1, v22
	s_wait_alu 0xf1ff
	v_cndmask_b32_e64 v30, 0, 1, s3
	v_cmp_gt_i32_e64 s3, 1, v27
	v_or_b32_e32 v3, v23, v3
	v_lshl_or_b32 v23, v22, 12, v9
	s_delay_alu instid0(VALU_DEP_4) | instskip(SKIP_4) | instid1(VALU_DEP_1)
	v_or_b32_e32 v30, v35, v30
	scratch_load_b32 v35, off, off offset:108 th:TH_LOAD_LU ; 4-byte Folded Reload
	v_cndmask_b32_e64 v3, v23, v3, s0
	s_wait_alu 0xf1ff
	v_cndmask_b32_e64 v30, v34, v30, s3
	v_and_b32_e32 v34, 7, v30
	v_lshrrev_b32_e32 v23, 2, v30
	v_cndmask_b32_e64 v30, 0, 1, s5
	s_delay_alu instid0(VALU_DEP_3)
	v_cmp_lt_i32_e64 s3, 5, v34
	v_cmp_eq_u32_e64 s4, 3, v34
	scratch_load_b32 v34, off, off offset:104 th:TH_LOAD_LU ; 4-byte Folded Reload
	v_lshl_or_b32 v30, v30, 9, 0x7c00
	s_or_b32 s0, s4, s3
	v_cmp_ne_u32_e64 s4, 0, v9
	s_wait_alu 0xfffe
	v_add_co_ci_u32_e64 v23, s0, 0, v23, s0
	v_cmp_gt_i32_e64 s0, 31, v27
	v_cndmask_b32_e64 v9, 0, 1, s1
	s_wait_alu 0xf1ff
	s_delay_alu instid0(VALU_DEP_2)
	v_cndmask_b32_e64 v23, 0x7c00, v23, s0
	v_cmp_eq_u32_e64 s0, 0x40f, v27
	v_and_b32_e32 v27, 7, v3
	v_lshrrev_b32_e32 v3, 2, v3
	v_or_b32_e32 v9, v26, v9
	v_cndmask_b32_e64 v26, 0, 1, s4
	s_wait_alu 0xf1ff
	v_cndmask_b32_e64 v23, v23, v30, s0
	v_cmp_lt_i32_e64 s0, 5, v27
	v_cmp_eq_u32_e64 s3, 3, v27
	v_lshrrev_b32_e32 v27, 16, v31
	v_lshl_or_b32 v26, v26, 9, 0x7c00
	s_delay_alu instid0(VALU_DEP_3) | instskip(NEXT) | instid1(VALU_DEP_2)
	s_or_b32 s0, s3, s0
	v_and_or_b32 v23, 0x8000, v27, v23
	s_wait_alu 0xfffe
	v_add_co_ci_u32_e64 v3, s0, 0, v3, s0
	v_cmp_gt_i32_e64 s0, 31, v22
	v_cmp_ne_u32_e64 s3, 0, v20
	s_wait_alu 0xf1ff
	s_delay_alu instid0(VALU_DEP_2) | instskip(SKIP_3) | instid1(VALU_DEP_2)
	v_cndmask_b32_e64 v3, 0x7c00, v3, s0
	v_cmp_eq_u32_e64 s0, 0x40f, v22
	v_add_nc_u32_e32 v22, 0xfffffc10, v25
	s_wait_alu 0xf1ff
	v_cndmask_b32_e64 v3, v3, v26, s0
	s_delay_alu instid0(VALU_DEP_2)
	v_lshl_or_b32 v25, v22, 12, v20
	v_cmp_gt_i32_e64 s0, 1, v22
	v_add_nc_u32_e32 v20, 0xfffffc10, v33
	scratch_load_b32 v33, off, off offset:120 th:TH_LOAD_LU ; 4-byte Folded Reload
	v_and_or_b32 v3, 0x8000, v19, v3
	s_wait_alu 0xf1ff
	v_cndmask_b32_e64 v9, v25, v9, s0
	s_delay_alu instid0(VALU_DEP_1) | instskip(SKIP_1) | instid1(VALU_DEP_2)
	v_and_b32_e32 v19, 7, v9
	v_lshrrev_b32_e32 v9, 2, v9
	v_cmp_lt_i32_e64 s0, 5, v19
	v_cmp_eq_u32_e64 s1, 3, v19
	v_and_b32_e32 v19, 0xffff, v23
	v_lshl_or_b32 v23, v20, 12, v32
	s_delay_alu instid0(VALU_DEP_3) | instskip(NEXT) | instid1(VALU_DEP_2)
	s_or_b32 s0, s1, s0
	v_lshl_or_b32 v3, v3, 16, v19
	v_cndmask_b32_e64 v19, 0, 1, s2
	v_cmp_gt_i32_e64 s2, 1, v20
	s_wait_alu 0xfffe
	v_add_co_ci_u32_e64 v9, s0, 0, v9, s0
	v_cmp_gt_i32_e64 s0, 31, v22
	v_or_b32_e32 v19, v36, v19
	global_store_b32 v[28:29], v3, off
	scratch_load_b32 v36, off, off offset:124 th:TH_LOAD_LU ; 4-byte Folded Reload
	s_wait_alu 0xf1ff
	v_cndmask_b32_e64 v9, 0x7c00, v9, s0
	v_cndmask_b32_e64 v19, v23, v19, s2
	;; [unrolled: 1-line block ×3, first 2 shown]
	v_cmp_eq_u32_e64 s0, 0x40f, v22
	v_cmp_ne_u32_e64 s2, 0, v32
	v_cmp_gt_i32_e64 s3, 1, v7
	v_and_b32_e32 v22, 7, v19
	v_lshl_or_b32 v23, v23, 9, 0x7c00
	v_lshrrev_b32_e32 v19, 2, v19
	s_delay_alu instid0(VALU_DEP_3) | instskip(SKIP_1) | instid1(VALU_DEP_3)
	v_cmp_eq_u32_e64 s1, 3, v22
	s_wait_alu 0xf1ff
	v_cndmask_b32_e64 v9, v9, v23, s0
	v_cmp_lt_i32_e64 s0, 5, v22
	v_cndmask_b32_e64 v22, 0, 1, s2
	s_delay_alu instid0(VALU_DEP_3) | instskip(NEXT) | instid1(VALU_DEP_3)
	v_and_or_b32 v9, 0x8000, v21, v9
	s_or_b32 s0, s1, s0
	s_delay_alu instid0(VALU_DEP_2)
	v_lshl_or_b32 v22, v22, 9, 0x7c00
	s_wait_alu 0xfffe
	v_add_co_ci_u32_e64 v19, s0, 0, v19, s0
	v_cmp_gt_i32_e64 s0, 31, v20
	v_and_b32_e32 v9, 0xffff, v9
	s_wait_alu 0xf1ff
	s_delay_alu instid0(VALU_DEP_2) | instskip(SKIP_2) | instid1(VALU_DEP_1)
	v_cndmask_b32_e64 v19, 0x7c00, v19, s0
	v_cmp_eq_u32_e64 s0, 0x40f, v20
	s_wait_alu 0xf1ff
	v_cndmask_b32_e64 v19, v19, v22, s0
	s_mul_i32 s0, s9, 0xffffd760
	scratch_load_b32 v22, off, off offset:128 th:TH_LOAD_LU ; 4-byte Folded Reload
	s_wait_alu 0xfffe
	s_sub_co_i32 s9, s0, s8
	v_and_or_b32 v3, 0x8000, v18, v19
	v_mad_co_u64_u32 v[18:19], null, 0xffffd760, s8, v[28:29]
	s_delay_alu instid0(VALU_DEP_2) | instskip(SKIP_1) | instid1(VALU_DEP_2)
	v_lshl_or_b32 v3, v3, 16, v9
	s_wait_alu 0xfffe
	v_add_nc_u32_e32 v19, s9, v19
	global_store_b32 v[18:19], v3, off
	v_cvt_f32_f16_e32 v3, v24
	v_add_co_u32 v18, s0, v18, s12
	s_wait_alu 0xf1ff
	v_add_co_ci_u32_e64 v19, s0, s13, v19, s0
	s_delay_alu instid0(VALU_DEP_3) | instskip(NEXT) | instid1(VALU_DEP_1)
	v_cvt_f64_f32_e32 v[20:21], v3
	v_mul_f64_e32 v[20:21], s[10:11], v[20:21]
	s_delay_alu instid0(VALU_DEP_1)
	v_and_or_b32 v3, 0x1ff, v21, v20
	scratch_load_b32 v20, off, off offset:132 th:TH_LOAD_LU ; 4-byte Folded Reload
	v_lshrrev_b32_e32 v9, 8, v21
	v_bfe_u32 v25, v21, 20, 11
	v_lshrrev_b32_e32 v21, 16, v21
	v_cmp_ne_u32_e64 s0, 0, v3
	s_wait_alu 0xf1ff
	s_delay_alu instid0(VALU_DEP_1) | instskip(NEXT) | instid1(VALU_DEP_1)
	v_cndmask_b32_e64 v3, 0, 1, s0
	v_and_or_b32 v24, 0xffe, v9, v3
	v_sub_nc_u32_e32 v3, 0x3f1, v25
	s_delay_alu instid0(VALU_DEP_2) | instskip(NEXT) | instid1(VALU_DEP_2)
	v_or_b32_e32 v9, 0x1000, v24
	v_med3_i32 v3, v3, 0, 13
	s_delay_alu instid0(VALU_DEP_1) | instskip(NEXT) | instid1(VALU_DEP_1)
	v_lshrrev_b32_e32 v26, v3, v9
	v_lshlrev_b32_e32 v3, v3, v26
	s_delay_alu instid0(VALU_DEP_1) | instskip(SKIP_2) | instid1(VALU_DEP_1)
	v_cmp_ne_u32_e64 s1, v3, v9
	v_lshrrev_b32_e32 v9, 16, v10
	s_wait_loadcnt 0x0
	v_mul_f16_e32 v3, v20, v9
	v_mul_f16_e32 v20, v20, v10
	s_delay_alu instid0(VALU_DEP_2) | instskip(NEXT) | instid1(VALU_DEP_2)
	v_fmac_f16_e32 v3, v22, v10
	v_fma_f16 v22, v22, v9, -v20
	v_mul_f16_e32 v9, v38, v13
	scratch_load_b32 v38, off, off offset:92 th:TH_LOAD_LU ; 4-byte Folded Reload
	v_cvt_f32_f16_e32 v3, v3
	v_fmac_f16_e32 v9, v37, v11
	scratch_load_b32 v37, off, off offset:88 th:TH_LOAD_LU ; 4-byte Folded Reload
	v_cvt_f32_f16_e32 v9, v9
	s_delay_alu instid0(VALU_DEP_1) | instskip(NEXT) | instid1(VALU_DEP_1)
	v_cvt_f64_f32_e32 v[9:10], v9
	v_mul_f64_e32 v[9:10], s[10:11], v[9:10]
	s_delay_alu instid0(VALU_DEP_1) | instskip(SKIP_1) | instid1(VALU_DEP_2)
	v_and_or_b32 v9, 0x1ff, v10, v9
	v_lshrrev_b32_e32 v11, 8, v10
	v_cmp_ne_u32_e64 s0, 0, v9
	s_wait_alu 0xf1ff
	s_delay_alu instid0(VALU_DEP_1) | instskip(NEXT) | instid1(VALU_DEP_1)
	v_cndmask_b32_e64 v9, 0, 1, s0
	v_and_or_b32 v9, 0xffe, v11, v9
	v_bfe_u32 v11, v10, 20, 11
	v_lshrrev_b32_e32 v10, 16, v10
	s_delay_alu instid0(VALU_DEP_3) | instskip(NEXT) | instid1(VALU_DEP_3)
	v_or_b32_e32 v20, 0x1000, v9
	v_sub_nc_u32_e32 v13, 0x3f1, v11
	v_add_nc_u32_e32 v11, 0xfffffc10, v11
	s_delay_alu instid0(VALU_DEP_2) | instskip(NEXT) | instid1(VALU_DEP_1)
	v_med3_i32 v13, v13, 0, 13
	v_lshrrev_b32_e32 v23, v13, v20
	s_delay_alu instid0(VALU_DEP_1) | instskip(NEXT) | instid1(VALU_DEP_1)
	v_lshlrev_b32_e32 v13, v13, v23
	v_cmp_ne_u32_e64 s0, v13, v20
	v_lshl_or_b32 v20, v11, 12, v9
	s_wait_alu 0xf1ff
	s_delay_alu instid0(VALU_DEP_2) | instskip(SKIP_1) | instid1(VALU_DEP_2)
	v_cndmask_b32_e64 v13, 0, 1, s0
	v_cmp_gt_i32_e64 s0, 1, v11
	v_or_b32_e32 v13, v23, v13
	scratch_load_b32 v23, off, off offset:112 th:TH_LOAD_LU ; 4-byte Folded Reload
	s_wait_alu 0xf1ff
	v_cndmask_b32_e64 v13, v20, v13, s0
	s_delay_alu instid0(VALU_DEP_1) | instskip(SKIP_1) | instid1(VALU_DEP_2)
	v_and_b32_e32 v20, 7, v13
	v_lshrrev_b32_e32 v13, 2, v13
	v_cmp_lt_i32_e64 s0, 5, v20
	v_cmp_eq_u32_e64 s2, 3, v20
	s_wait_alu 0xfffd
	v_cndmask_b32_e64 v20, 0, 1, vcc_lo
	v_cmp_ne_u32_e32 vcc_lo, 0, v9
	v_lshl_or_b32 v9, v7, 12, v1
	s_or_b32 s0, s2, s0
	s_delay_alu instid0(VALU_DEP_3)
	v_or_b32_e32 v16, v16, v20
	s_wait_alu 0xfffe
	v_add_co_ci_u32_e64 v13, s0, 0, v13, s0
	v_cmp_gt_i32_e64 s0, 31, v11
	v_cmp_ne_u32_e64 s2, 0, v1
	v_cndmask_b32_e64 v9, v9, v16, s3
	s_wait_alu 0xfffd
	v_cndmask_b32_e64 v16, 0, 1, vcc_lo
	v_cmp_eq_u32_e32 vcc_lo, 0x40f, v11
	s_wait_alu 0xf1ff
	v_cndmask_b32_e64 v13, 0x7c00, v13, s0
	v_lshrrev_b32_e32 v1, 2, v9
	v_lshl_or_b32 v16, v16, 9, 0x7c00
	s_wait_alu 0xfffd
	s_delay_alu instid0(VALU_DEP_1) | instskip(SKIP_2) | instid1(VALU_DEP_2)
	v_cndmask_b32_e32 v11, v13, v16, vcc_lo
	v_and_b32_e32 v13, 7, v9
	v_cndmask_b32_e64 v9, 0, 1, s2
	v_cmp_lt_i32_e32 vcc_lo, 5, v13
	v_cmp_eq_u32_e64 s0, 3, v13
	s_delay_alu instid0(VALU_DEP_3) | instskip(NEXT) | instid1(VALU_DEP_2)
	v_lshl_or_b32 v9, v9, 9, 0x7c00
	s_or_b32 vcc_lo, s0, vcc_lo
	s_wait_alu 0xfffe
	v_add_co_ci_u32_e32 v1, vcc_lo, 0, v1, vcc_lo
	v_cmp_gt_i32_e32 vcc_lo, 31, v7
	s_wait_alu 0xfffd
	s_delay_alu instid0(VALU_DEP_2)
	v_cndmask_b32_e32 v1, 0x7c00, v1, vcc_lo
	v_cmp_eq_u32_e32 vcc_lo, 0x40f, v7
	v_lshrrev_b32_e32 v7, 16, v17
	ds_load_2addr_b32 v[16:17], v146 offset0:104 offset1:204
	s_wait_alu 0xfffd
	v_cndmask_b32_e32 v1, v1, v9, vcc_lo
	v_and_or_b32 v9, 0x8000, v10, v11
	v_add_co_u32 v10, vcc_lo, v18, s12
	s_wait_alu 0xfffd
	v_add_co_ci_u32_e32 v11, vcc_lo, s13, v19, vcc_lo
	v_and_or_b32 v1, 0x8000, v7, v1
	v_and_b32_e32 v7, 0xffff, v9
	s_delay_alu instid0(VALU_DEP_1) | instskip(SKIP_4) | instid1(VALU_DEP_1)
	v_lshl_or_b32 v1, v1, 16, v7
	global_store_b32 v[18:19], v1, off
	s_wait_dscnt 0x0
	v_lshrrev_b32_e32 v27, 16, v16
	v_mul_f16_e32 v1, v36, v16
	v_fma_f16 v1, v33, v27, -v1
	s_delay_alu instid0(VALU_DEP_1) | instskip(NEXT) | instid1(VALU_DEP_1)
	v_cvt_f32_f16_e32 v1, v1
	v_cvt_f64_f32_e32 v[18:19], v1
	s_delay_alu instid0(VALU_DEP_1) | instskip(NEXT) | instid1(VALU_DEP_1)
	v_mul_f64_e32 v[19:20], s[10:11], v[18:19]
	v_and_or_b32 v1, 0x1ff, v20, v19
	v_lshrrev_b32_e32 v7, 8, v20
	v_bfe_u32 v29, v20, 20, 11
	s_delay_alu instid0(VALU_DEP_3) | instskip(SKIP_2) | instid1(VALU_DEP_1)
	v_cmp_ne_u32_e32 vcc_lo, 0, v1
	s_wait_alu 0xfffd
	v_cndmask_b32_e64 v1, 0, 1, vcc_lo
	v_and_or_b32 v28, 0xffe, v7, v1
	v_sub_nc_u32_e32 v1, 0x3f1, v29
	s_delay_alu instid0(VALU_DEP_2) | instskip(NEXT) | instid1(VALU_DEP_2)
	v_or_b32_e32 v7, 0x1000, v28
	v_med3_i32 v1, v1, 0, 13
	s_delay_alu instid0(VALU_DEP_1) | instskip(NEXT) | instid1(VALU_DEP_1)
	v_lshrrev_b32_e32 v30, v1, v7
	v_lshlrev_b32_e32 v1, v1, v30
	s_delay_alu instid0(VALU_DEP_1) | instskip(SKIP_3) | instid1(VALU_DEP_1)
	v_cmp_ne_u32_e64 s0, v1, v7
	v_cvt_f32_f16_e32 v1, v22
	scratch_load_b32 v22, off, off offset:116 th:TH_LOAD_LU ; 4-byte Folded Reload
	v_cvt_f64_f32_e32 v[18:19], v1
	v_mul_f64_e32 v[18:19], s[10:11], v[18:19]
	s_delay_alu instid0(VALU_DEP_1) | instskip(SKIP_2) | instid1(VALU_DEP_3)
	v_and_or_b32 v1, 0x1ff, v19, v18
	v_lshrrev_b32_e32 v7, 8, v19
	v_bfe_u32 v9, v19, 20, 11
	v_cmp_ne_u32_e32 vcc_lo, 0, v1
	s_wait_alu 0xfffd
	v_cndmask_b32_e64 v1, 0, 1, vcc_lo
	s_delay_alu instid0(VALU_DEP_1) | instskip(SKIP_1) | instid1(VALU_DEP_2)
	v_and_or_b32 v7, 0xffe, v7, v1
	v_sub_nc_u32_e32 v1, 0x3f1, v9
	v_or_b32_e32 v18, 0x1000, v7
	s_delay_alu instid0(VALU_DEP_2) | instskip(NEXT) | instid1(VALU_DEP_1)
	v_med3_i32 v1, v1, 0, 13
	v_lshrrev_b32_e32 v13, v1, v18
	s_delay_alu instid0(VALU_DEP_1) | instskip(NEXT) | instid1(VALU_DEP_1)
	v_lshlrev_b32_e32 v1, v1, v13
	v_cmp_ne_u32_e32 vcc_lo, v1, v18
	v_lshrrev_b32_e32 v18, 16, v15
	s_wait_loadcnt 0x0
	s_delay_alu instid0(VALU_DEP_1) | instskip(SKIP_1) | instid1(VALU_DEP_2)
	v_mul_f16_e32 v1, v22, v18
	v_mul_f16_e32 v22, v22, v15
	v_fmac_f16_e32 v1, v23, v15
	s_delay_alu instid0(VALU_DEP_2) | instskip(SKIP_1) | instid1(VALU_DEP_3)
	v_fma_f16 v31, v23, v18, -v22
	v_cvt_f64_f32_e32 v[22:23], v5
	v_cvt_f32_f16_e32 v1, v1
	s_delay_alu instid0(VALU_DEP_2) | instskip(NEXT) | instid1(VALU_DEP_1)
	v_mul_f64_e32 v[22:23], s[10:11], v[22:23]
	v_and_or_b32 v5, 0x1ff, v23, v22
	v_lshrrev_b32_e32 v15, 8, v23
	s_delay_alu instid0(VALU_DEP_2) | instskip(SKIP_1) | instid1(VALU_DEP_1)
	v_cmp_ne_u32_e64 s2, 0, v5
	s_wait_alu 0xf1ff
	v_cndmask_b32_e64 v5, 0, 1, s2
	s_delay_alu instid0(VALU_DEP_1) | instskip(SKIP_1) | instid1(VALU_DEP_2)
	v_and_or_b32 v5, 0xffe, v15, v5
	v_bfe_u32 v15, v23, 20, 11
	v_or_b32_e32 v22, 0x1000, v5
	s_delay_alu instid0(VALU_DEP_2) | instskip(SKIP_1) | instid1(VALU_DEP_2)
	v_sub_nc_u32_e32 v18, 0x3f1, v15
	v_add_nc_u32_e32 v15, 0xfffffc10, v15
	v_med3_i32 v18, v18, 0, 13
	s_delay_alu instid0(VALU_DEP_1) | instskip(NEXT) | instid1(VALU_DEP_1)
	v_lshrrev_b32_e32 v32, v18, v22
	v_lshlrev_b32_e32 v18, v18, v32
	s_delay_alu instid0(VALU_DEP_1) | instskip(SKIP_2) | instid1(VALU_DEP_2)
	v_cmp_ne_u32_e64 s2, v18, v22
	v_lshl_or_b32 v22, v15, 12, v5
	s_wait_alu 0xf1ff
	v_cndmask_b32_e64 v18, 0, 1, s2
	v_cmp_gt_i32_e64 s2, 1, v15
	s_delay_alu instid0(VALU_DEP_2) | instskip(SKIP_1) | instid1(VALU_DEP_1)
	v_or_b32_e32 v18, v32, v18
	s_wait_alu 0xf1ff
	v_cndmask_b32_e64 v18, v22, v18, s2
	s_delay_alu instid0(VALU_DEP_1) | instskip(SKIP_1) | instid1(VALU_DEP_2)
	v_and_b32_e32 v22, 7, v18
	v_lshrrev_b32_e32 v18, 2, v18
	v_cmp_lt_i32_e64 s2, 5, v22
	v_cmp_eq_u32_e64 s3, 3, v22
	v_cndmask_b32_e64 v22, 0, 1, s1
	v_cmp_ne_u32_e64 s1, 0, v5
	v_add_nc_u32_e32 v5, 0xfffffc10, v25
	s_delay_alu instid0(VALU_DEP_4) | instskip(NEXT) | instid1(VALU_DEP_3)
	s_or_b32 s2, s3, s2
	v_or_b32_e32 v22, v26, v22
	s_wait_alu 0xfffe
	v_add_co_ci_u32_e64 v18, s2, 0, v18, s2
	v_lshl_or_b32 v25, v5, 12, v24
	v_cmp_gt_i32_e64 s4, 1, v5
	v_cmp_gt_i32_e64 s2, 31, v15
	v_cmp_ne_u32_e64 s3, 0, v24
	s_wait_alu 0xf1ff
	s_delay_alu instid0(VALU_DEP_3) | instskip(SKIP_3) | instid1(VALU_DEP_3)
	v_cndmask_b32_e64 v22, v25, v22, s4
	v_cndmask_b32_e64 v25, 0, 1, s1
	;; [unrolled: 1-line block ×3, first 2 shown]
	v_cmp_eq_u32_e64 s1, 0x40f, v15
	v_lshl_or_b32 v25, v25, 9, 0x7c00
	s_wait_alu 0xf1ff
	s_delay_alu instid0(VALU_DEP_1) | instskip(SKIP_3) | instid1(VALU_DEP_3)
	v_cndmask_b32_e64 v15, v18, v25, s1
	v_lshrrev_b32_e32 v18, 16, v23
	v_and_b32_e32 v23, 7, v22
	v_lshrrev_b32_e32 v22, 2, v22
	v_and_or_b32 v15, 0x8000, v18, v15
	s_delay_alu instid0(VALU_DEP_3) | instskip(SKIP_2) | instid1(VALU_DEP_4)
	v_cmp_lt_i32_e64 s1, 5, v23
	v_cmp_eq_u32_e64 s2, 3, v23
	v_cndmask_b32_e64 v23, 0, 1, s3
	v_and_b32_e32 v15, 0xffff, v15
	s_delay_alu instid0(VALU_DEP_3) | instskip(NEXT) | instid1(VALU_DEP_2)
	s_or_b32 s1, s2, s1
	v_lshl_or_b32 v23, v23, 9, 0x7c00
	s_wait_alu 0xfffe
	v_add_co_ci_u32_e64 v22, s1, 0, v22, s1
	v_cmp_gt_i32_e64 s1, 31, v5
	s_wait_alu 0xf1ff
	s_delay_alu instid0(VALU_DEP_1) | instskip(SKIP_2) | instid1(VALU_DEP_1)
	v_cndmask_b32_e64 v22, 0x7c00, v22, s1
	v_cmp_eq_u32_e64 s1, 0x40f, v5
	s_wait_alu 0xf1ff
	v_cndmask_b32_e64 v5, v22, v23, s1
	s_delay_alu instid0(VALU_DEP_1) | instskip(SKIP_3) | instid1(VALU_DEP_3)
	v_and_or_b32 v5, 0x8000, v21, v5
	v_add_co_u32 v21, s1, v10, s12
	s_wait_alu 0xf1ff
	v_add_co_ci_u32_e64 v22, s1, s13, v11, s1
	v_lshl_or_b32 v5, v5, 16, v15
	global_store_b32 v[10:11], v5, off
	ds_load_2addr_b32 v[10:11], v97 offset0:64 offset1:164
	s_wait_dscnt 0x0
	v_lshrrev_b32_e32 v25, 16, v10
	v_mul_f16_e32 v5, v35, v10
	s_delay_alu instid0(VALU_DEP_1) | instskip(NEXT) | instid1(VALU_DEP_1)
	v_fma_f16 v5, v34, v25, -v5
	v_cvt_f32_f16_e32 v5, v5
	s_delay_alu instid0(VALU_DEP_1) | instskip(NEXT) | instid1(VALU_DEP_1)
	v_cvt_f64_f32_e32 v[23:24], v5
	v_mul_f64_e32 v[23:24], s[10:11], v[23:24]
	s_delay_alu instid0(VALU_DEP_1) | instskip(SKIP_2) | instid1(VALU_DEP_3)
	v_and_or_b32 v5, 0x1ff, v24, v23
	v_lshrrev_b32_e32 v15, 8, v24
	v_bfe_u32 v26, v24, 20, 11
	v_cmp_ne_u32_e64 s1, 0, v5
	s_wait_alu 0xf1ff
	s_delay_alu instid0(VALU_DEP_1) | instskip(NEXT) | instid1(VALU_DEP_1)
	v_cndmask_b32_e64 v5, 0, 1, s1
	v_and_or_b32 v23, 0xffe, v15, v5
	v_sub_nc_u32_e32 v5, 0x3f1, v26
	s_delay_alu instid0(VALU_DEP_2) | instskip(NEXT) | instid1(VALU_DEP_2)
	v_or_b32_e32 v15, 0x1000, v23
	v_med3_i32 v5, v5, 0, 13
	s_delay_alu instid0(VALU_DEP_1) | instskip(NEXT) | instid1(VALU_DEP_1)
	v_lshrrev_b32_e32 v32, v5, v15
	v_lshlrev_b32_e32 v5, v5, v32
	s_delay_alu instid0(VALU_DEP_1) | instskip(SKIP_1) | instid1(VALU_DEP_1)
	v_cmp_ne_u32_e64 s1, v5, v15
	v_mul_f16_e32 v5, v36, v27
	v_fmac_f16_e32 v5, v33, v16
	s_delay_alu instid0(VALU_DEP_1) | instskip(NEXT) | instid1(VALU_DEP_1)
	v_cvt_f32_f16_e32 v5, v5
	v_cvt_f64_f32_e32 v[15:16], v5
	s_delay_alu instid0(VALU_DEP_1) | instskip(NEXT) | instid1(VALU_DEP_1)
	v_mul_f64_e32 v[15:16], s[10:11], v[15:16]
	v_and_or_b32 v5, 0x1ff, v16, v15
	v_lshrrev_b32_e32 v15, 8, v16
	s_delay_alu instid0(VALU_DEP_2) | instskip(SKIP_1) | instid1(VALU_DEP_1)
	v_cmp_ne_u32_e64 s2, 0, v5
	s_wait_alu 0xf1ff
	v_cndmask_b32_e64 v5, 0, 1, s2
	s_delay_alu instid0(VALU_DEP_1) | instskip(SKIP_2) | instid1(VALU_DEP_3)
	v_and_or_b32 v5, 0xffe, v15, v5
	v_bfe_u32 v15, v16, 20, 11
	v_lshrrev_b32_e32 v16, 16, v16
	v_or_b32_e32 v27, 0x1000, v5
	s_delay_alu instid0(VALU_DEP_3) | instskip(SKIP_1) | instid1(VALU_DEP_2)
	v_sub_nc_u32_e32 v18, 0x3f1, v15
	v_add_nc_u32_e32 v15, 0xfffffc10, v15
	v_med3_i32 v18, v18, 0, 13
	s_delay_alu instid0(VALU_DEP_1) | instskip(NEXT) | instid1(VALU_DEP_1)
	v_lshrrev_b32_e32 v33, v18, v27
	v_lshlrev_b32_e32 v18, v18, v33
	s_delay_alu instid0(VALU_DEP_1) | instskip(SKIP_2) | instid1(VALU_DEP_2)
	v_cmp_ne_u32_e64 s2, v18, v27
	v_lshl_or_b32 v27, v15, 12, v5
	s_wait_alu 0xf1ff
	v_cndmask_b32_e64 v18, 0, 1, s2
	v_cmp_gt_i32_e64 s2, 1, v15
	s_delay_alu instid0(VALU_DEP_2) | instskip(SKIP_1) | instid1(VALU_DEP_1)
	v_or_b32_e32 v18, v33, v18
	s_wait_alu 0xf1ff
	v_cndmask_b32_e64 v18, v27, v18, s2
	s_delay_alu instid0(VALU_DEP_1) | instskip(SKIP_1) | instid1(VALU_DEP_2)
	v_and_b32_e32 v27, 7, v18
	v_lshrrev_b32_e32 v18, 2, v18
	v_cmp_lt_i32_e64 s2, 5, v27
	v_cmp_eq_u32_e64 s3, 3, v27
	v_cndmask_b32_e64 v27, 0, 1, s0
	v_cmp_ne_u32_e64 s0, 0, v5
	v_add_nc_u32_e32 v5, 0xfffffc10, v29
	s_delay_alu instid0(VALU_DEP_4) | instskip(NEXT) | instid1(VALU_DEP_3)
	s_or_b32 s2, s3, s2
	v_or_b32_e32 v27, v30, v27
	s_wait_alu 0xfffe
	v_add_co_ci_u32_e64 v18, s2, 0, v18, s2
	v_lshl_or_b32 v29, v5, 12, v28
	v_cmp_gt_i32_e64 s4, 1, v5
	v_cmp_gt_i32_e64 s2, 31, v15
	v_cmp_ne_u32_e64 s3, 0, v28
	s_wait_alu 0xf1ff
	s_delay_alu instid0(VALU_DEP_3) | instskip(SKIP_3) | instid1(VALU_DEP_3)
	v_cndmask_b32_e64 v27, v29, v27, s4
	v_cndmask_b32_e64 v29, 0, 1, s0
	;; [unrolled: 1-line block ×3, first 2 shown]
	v_cmp_eq_u32_e64 s0, 0x40f, v15
	v_lshl_or_b32 v29, v29, 9, 0x7c00
	s_wait_alu 0xf1ff
	s_delay_alu instid0(VALU_DEP_1) | instskip(SKIP_1) | instid1(VALU_DEP_2)
	v_cndmask_b32_e64 v15, v18, v29, s0
	v_and_b32_e32 v18, 7, v27
	v_and_or_b32 v15, 0x8000, v16, v15
	s_delay_alu instid0(VALU_DEP_2) | instskip(SKIP_4) | instid1(VALU_DEP_4)
	v_cmp_lt_i32_e64 s0, 5, v18
	v_cmp_eq_u32_e64 s2, 3, v18
	v_lshrrev_b32_e32 v18, 2, v27
	v_cndmask_b32_e64 v27, 0, 1, s3
	v_and_b32_e32 v15, 0xffff, v15
	s_or_b32 s0, s2, s0
	s_wait_alu 0xfffe
	v_add_co_ci_u32_e64 v18, s0, 0, v18, s0
	v_cmp_gt_i32_e64 s0, 31, v5
	v_lshl_or_b32 v27, v27, 9, 0x7c00
	s_wait_alu 0xf1ff
	s_delay_alu instid0(VALU_DEP_2) | instskip(SKIP_2) | instid1(VALU_DEP_1)
	v_cndmask_b32_e64 v18, 0x7c00, v18, s0
	v_cmp_eq_u32_e64 s0, 0x40f, v5
	s_wait_alu 0xf1ff
	v_cndmask_b32_e64 v5, v18, v27, s0
	v_lshrrev_b32_e32 v18, 16, v20
	s_delay_alu instid0(VALU_DEP_1) | instskip(NEXT) | instid1(VALU_DEP_1)
	v_and_or_b32 v5, 0x8000, v18, v5
	v_lshl_or_b32 v5, v5, 16, v15
	v_add_co_u32 v15, s0, v21, s12
	s_wait_alu 0xf1ff
	v_add_co_ci_u32_e64 v16, s0, s13, v22, s0
	global_store_b32 v[21:22], v5, off
	v_cvt_f64_f32_e32 v[20:21], v3
	s_delay_alu instid0(VALU_DEP_1) | instskip(NEXT) | instid1(VALU_DEP_1)
	v_mul_f64_e32 v[20:21], s[10:11], v[20:21]
	v_and_or_b32 v3, 0x1ff, v21, v20
	v_lshrrev_b32_e32 v5, 8, v21
	s_delay_alu instid0(VALU_DEP_2) | instskip(SKIP_1) | instid1(VALU_DEP_1)
	v_cmp_ne_u32_e64 s0, 0, v3
	s_wait_alu 0xf1ff
	v_cndmask_b32_e64 v3, 0, 1, s0
	s_delay_alu instid0(VALU_DEP_1) | instskip(SKIP_1) | instid1(VALU_DEP_2)
	v_and_or_b32 v3, 0xffe, v5, v3
	v_bfe_u32 v5, v21, 20, 11
	v_or_b32_e32 v20, 0x1000, v3
	s_delay_alu instid0(VALU_DEP_2) | instskip(SKIP_1) | instid1(VALU_DEP_2)
	v_sub_nc_u32_e32 v18, 0x3f1, v5
	v_add_nc_u32_e32 v5, 0xfffffc10, v5
	v_med3_i32 v18, v18, 0, 13
	s_delay_alu instid0(VALU_DEP_1) | instskip(NEXT) | instid1(VALU_DEP_1)
	v_lshrrev_b32_e32 v22, v18, v20
	v_lshlrev_b32_e32 v18, v18, v22
	s_delay_alu instid0(VALU_DEP_1) | instskip(SKIP_2) | instid1(VALU_DEP_2)
	v_cmp_ne_u32_e64 s0, v18, v20
	v_lshl_or_b32 v20, v5, 12, v3
	s_wait_alu 0xf1ff
	v_cndmask_b32_e64 v18, 0, 1, s0
	v_cmp_gt_i32_e64 s0, 1, v5
	s_delay_alu instid0(VALU_DEP_2) | instskip(SKIP_1) | instid1(VALU_DEP_1)
	v_or_b32_e32 v18, v22, v18
	s_wait_alu 0xf1ff
	v_cndmask_b32_e64 v18, v20, v18, s0
	s_delay_alu instid0(VALU_DEP_1) | instskip(NEXT) | instid1(VALU_DEP_1)
	v_and_b32_e32 v20, 7, v18
	v_cmp_lt_i32_e64 s0, 5, v20
	v_cmp_eq_u32_e64 s2, 3, v20
	s_wait_alu 0xfffd
	v_cndmask_b32_e64 v20, 0, 1, vcc_lo
	v_cmp_ne_u32_e32 vcc_lo, 0, v3
	v_add_nc_u32_e32 v3, 0xfffffc10, v9
	s_or_b32 s0, s2, s0
	s_delay_alu instid0(VALU_DEP_3) | instskip(SKIP_1) | instid1(VALU_DEP_3)
	v_or_b32_e32 v13, v13, v20
	v_cmp_ne_u32_e64 s2, 0, v7
	v_lshl_or_b32 v9, v3, 12, v7
	v_cmp_gt_i32_e64 s3, 1, v3
	v_lshrrev_b32_e32 v7, 16, v21
	scratch_load_b32 v20, off, off offset:96 th:TH_LOAD_LU ; 4-byte Folded Reload
	s_wait_alu 0xf1ff
	v_cndmask_b32_e64 v9, v9, v13, s3
	v_lshrrev_b32_e32 v13, 2, v18
	s_wait_alu 0xfffd
	v_cndmask_b32_e64 v18, 0, 1, vcc_lo
	v_cmp_eq_u32_e32 vcc_lo, 0x40f, v5
	s_wait_alu 0xfffe
	v_add_co_ci_u32_e64 v13, s0, 0, v13, s0
	v_cmp_gt_i32_e64 s0, 31, v5
	v_lshl_or_b32 v18, v18, 9, 0x7c00
	s_wait_alu 0xf1ff
	s_delay_alu instid0(VALU_DEP_2) | instskip(SKIP_1) | instid1(VALU_DEP_1)
	v_cndmask_b32_e64 v13, 0x7c00, v13, s0
	s_wait_alu 0xfffd
	v_cndmask_b32_e32 v5, v13, v18, vcc_lo
	v_and_b32_e32 v13, 7, v9
	v_lshrrev_b32_e32 v9, 2, v9
	s_delay_alu instid0(VALU_DEP_3) | instskip(NEXT) | instid1(VALU_DEP_3)
	v_and_or_b32 v5, 0x8000, v7, v5
	v_cmp_lt_i32_e32 vcc_lo, 5, v13
	v_cmp_eq_u32_e64 s0, 3, v13
	v_cndmask_b32_e64 v13, 0, 1, s2
	s_delay_alu instid0(VALU_DEP_4) | instskip(NEXT) | instid1(VALU_DEP_3)
	v_and_b32_e32 v5, 0xffff, v5
	s_or_b32 vcc_lo, s0, vcc_lo
	s_delay_alu instid0(VALU_DEP_2) | instskip(SKIP_4) | instid1(VALU_DEP_2)
	v_lshl_or_b32 v13, v13, 9, 0x7c00
	s_wait_alu 0xfffe
	v_add_co_ci_u32_e32 v9, vcc_lo, 0, v9, vcc_lo
	v_cmp_gt_i32_e32 vcc_lo, 31, v3
	s_wait_alu 0xfffd
	v_cndmask_b32_e32 v9, 0x7c00, v9, vcc_lo
	v_cmp_eq_u32_e32 vcc_lo, 0x40f, v3
	s_wait_alu 0xfffd
	s_delay_alu instid0(VALU_DEP_2) | instskip(SKIP_4) | instid1(VALU_DEP_3)
	v_cndmask_b32_e32 v3, v9, v13, vcc_lo
	v_lshrrev_b32_e32 v9, 16, v19
	v_add_co_u32 v18, vcc_lo, v15, s12
	s_wait_alu 0xfffd
	v_add_co_ci_u32_e32 v19, vcc_lo, s13, v16, vcc_lo
	v_and_or_b32 v3, 0x8000, v9, v3
	s_delay_alu instid0(VALU_DEP_1) | instskip(SKIP_2) | instid1(VALU_DEP_1)
	v_lshl_or_b32 v3, v3, 16, v5
	global_store_b32 v[15:16], v3, off
	v_cvt_f32_f16_e32 v3, v31
	v_cvt_f64_f32_e32 v[15:16], v3
	s_delay_alu instid0(VALU_DEP_1) | instskip(NEXT) | instid1(VALU_DEP_1)
	v_mul_f64_e32 v[15:16], s[10:11], v[15:16]
	v_and_or_b32 v3, 0x1ff, v16, v15
	scratch_load_b32 v15, off, off offset:100 th:TH_LOAD_LU ; 4-byte Folded Reload
	v_lshrrev_b32_e32 v5, 8, v16
	v_bfe_u32 v7, v16, 20, 11
	v_cmp_ne_u32_e32 vcc_lo, 0, v3
	s_wait_alu 0xfffd
	v_cndmask_b32_e64 v3, 0, 1, vcc_lo
	s_delay_alu instid0(VALU_DEP_1) | instskip(SKIP_1) | instid1(VALU_DEP_2)
	v_and_or_b32 v5, 0xffe, v5, v3
	v_sub_nc_u32_e32 v3, 0x3f1, v7
	v_or_b32_e32 v9, 0x1000, v5
	s_delay_alu instid0(VALU_DEP_2) | instskip(NEXT) | instid1(VALU_DEP_1)
	v_med3_i32 v3, v3, 0, 13
	v_lshrrev_b32_e32 v13, v3, v9
	s_delay_alu instid0(VALU_DEP_1) | instskip(NEXT) | instid1(VALU_DEP_1)
	v_lshlrev_b32_e32 v3, v3, v13
	v_cmp_ne_u32_e32 vcc_lo, v3, v9
	v_lshrrev_b32_e32 v9, 16, v14
	s_wait_loadcnt 0x0
	s_delay_alu instid0(VALU_DEP_1) | instskip(SKIP_1) | instid1(VALU_DEP_2)
	v_mul_f16_e32 v3, v15, v9
	v_mul_f16_e32 v15, v15, v14
	v_fmac_f16_e32 v3, v20, v14
	s_delay_alu instid0(VALU_DEP_2) | instskip(SKIP_1) | instid1(VALU_DEP_3)
	v_fma_f16 v20, v20, v9, -v15
	v_mul_f16_e32 v9, v35, v25
	v_cvt_f32_f16_e32 v3, v3
	s_delay_alu instid0(VALU_DEP_3) | instskip(NEXT) | instid1(VALU_DEP_3)
	v_cvt_f32_f16_e32 v20, v20
	v_fmac_f16_e32 v9, v34, v10
	s_delay_alu instid0(VALU_DEP_1) | instskip(NEXT) | instid1(VALU_DEP_1)
	v_cvt_f32_f16_e32 v9, v9
	v_cvt_f64_f32_e32 v[9:10], v9
	s_delay_alu instid0(VALU_DEP_1) | instskip(NEXT) | instid1(VALU_DEP_1)
	v_mul_f64_e32 v[9:10], s[10:11], v[9:10]
	v_and_or_b32 v9, 0x1ff, v10, v9
	v_lshrrev_b32_e32 v14, 8, v10
	s_delay_alu instid0(VALU_DEP_2) | instskip(SKIP_1) | instid1(VALU_DEP_1)
	v_cmp_ne_u32_e64 s0, 0, v9
	s_wait_alu 0xf1ff
	v_cndmask_b32_e64 v9, 0, 1, s0
	s_delay_alu instid0(VALU_DEP_1) | instskip(SKIP_2) | instid1(VALU_DEP_3)
	v_and_or_b32 v9, 0xffe, v14, v9
	v_bfe_u32 v14, v10, 20, 11
	v_lshrrev_b32_e32 v10, 16, v10
	v_or_b32_e32 v21, 0x1000, v9
	s_delay_alu instid0(VALU_DEP_3) | instskip(SKIP_1) | instid1(VALU_DEP_2)
	v_sub_nc_u32_e32 v15, 0x3f1, v14
	v_add_nc_u32_e32 v14, 0xfffffc10, v14
	v_med3_i32 v15, v15, 0, 13
	s_delay_alu instid0(VALU_DEP_1) | instskip(NEXT) | instid1(VALU_DEP_1)
	v_lshrrev_b32_e32 v22, v15, v21
	v_lshlrev_b32_e32 v15, v15, v22
	s_delay_alu instid0(VALU_DEP_1) | instskip(SKIP_2) | instid1(VALU_DEP_2)
	v_cmp_ne_u32_e64 s0, v15, v21
	v_lshl_or_b32 v21, v14, 12, v9
	s_wait_alu 0xf1ff
	v_cndmask_b32_e64 v15, 0, 1, s0
	v_cmp_gt_i32_e64 s0, 1, v14
	s_delay_alu instid0(VALU_DEP_2) | instskip(SKIP_1) | instid1(VALU_DEP_1)
	v_or_b32_e32 v15, v22, v15
	s_wait_alu 0xf1ff
	v_cndmask_b32_e64 v15, v21, v15, s0
	s_delay_alu instid0(VALU_DEP_1) | instskip(SKIP_1) | instid1(VALU_DEP_2)
	v_and_b32_e32 v21, 7, v15
	v_lshrrev_b32_e32 v15, 2, v15
	v_cmp_lt_i32_e64 s0, 5, v21
	v_cmp_eq_u32_e64 s2, 3, v21
	v_cndmask_b32_e64 v21, 0, 1, s1
	v_cmp_ne_u32_e64 s1, 0, v9
	v_add_nc_u32_e32 v9, 0xfffffc10, v26
	s_delay_alu instid0(VALU_DEP_4) | instskip(NEXT) | instid1(VALU_DEP_3)
	s_or_b32 s0, s2, s0
	v_or_b32_e32 v21, v32, v21
	s_wait_alu 0xfffe
	v_add_co_ci_u32_e64 v15, s0, 0, v15, s0
	v_lshl_or_b32 v22, v9, 12, v23
	v_cmp_gt_i32_e64 s3, 1, v9
	v_cmp_gt_i32_e64 s0, 31, v14
	v_cmp_ne_u32_e64 s2, 0, v23
	scratch_load_b32 v23, off, off offset:80 th:TH_LOAD_LU ; 4-byte Folded Reload
	s_wait_alu 0xf1ff
	v_cndmask_b32_e64 v21, v22, v21, s3
	v_cndmask_b32_e64 v22, 0, 1, s1
	;; [unrolled: 1-line block ×3, first 2 shown]
	v_cmp_eq_u32_e64 s0, 0x40f, v14
	s_delay_alu instid0(VALU_DEP_3) | instskip(SKIP_1) | instid1(VALU_DEP_1)
	v_lshl_or_b32 v22, v22, 9, 0x7c00
	s_wait_alu 0xf1ff
	v_cndmask_b32_e64 v14, v15, v22, s0
	v_and_b32_e32 v15, 7, v21
	s_delay_alu instid0(VALU_DEP_2) | instskip(NEXT) | instid1(VALU_DEP_2)
	v_and_or_b32 v10, 0x8000, v10, v14
	v_cmp_lt_i32_e64 s0, 5, v15
	v_cmp_eq_u32_e64 s1, 3, v15
	v_lshrrev_b32_e32 v15, 2, v21
	v_cndmask_b32_e64 v21, 0, 1, s2
	v_and_b32_e32 v10, 0xffff, v10
	s_delay_alu instid0(VALU_DEP_4)
	s_or_b32 s0, s1, s0
	s_wait_alu 0xfffe
	v_add_co_ci_u32_e64 v15, s0, 0, v15, s0
	v_cmp_gt_i32_e64 s0, 31, v9
	v_lshl_or_b32 v21, v21, 9, 0x7c00
	s_wait_alu 0xf1ff
	s_delay_alu instid0(VALU_DEP_2) | instskip(SKIP_2) | instid1(VALU_DEP_1)
	v_cndmask_b32_e64 v15, 0x7c00, v15, s0
	v_cmp_eq_u32_e64 s0, 0x40f, v9
	s_wait_alu 0xf1ff
	v_cndmask_b32_e64 v9, v15, v21, s0
	v_lshrrev_b32_e32 v15, 16, v24
	v_add_co_u32 v14, s0, v18, s12
	s_delay_alu instid0(VALU_DEP_2) | instskip(SKIP_2) | instid1(VALU_DEP_2)
	v_and_or_b32 v9, 0x8000, v15, v9
	s_wait_alu 0xf1ff
	v_add_co_ci_u32_e64 v15, s0, s13, v19, s0
	v_lshl_or_b32 v9, v9, 16, v10
	global_store_b32 v[18:19], v9, off
	ds_load_2addr_b32 v[9:10], v137 offset0:152 offset1:252
	s_wait_dscnt 0x0
	v_lshrrev_b32_e32 v29, 16, v9
	v_mul_f16_e32 v18, v38, v9
	s_delay_alu instid0(VALU_DEP_1) | instskip(NEXT) | instid1(VALU_DEP_1)
	v_fma_f16 v18, v37, v29, -v18
	v_cvt_f32_f16_e32 v18, v18
	s_delay_alu instid0(VALU_DEP_1) | instskip(NEXT) | instid1(VALU_DEP_1)
	v_cvt_f64_f32_e32 v[18:19], v18
	v_mul_f64_e32 v[18:19], s[10:11], v[18:19]
	s_delay_alu instid0(VALU_DEP_1) | instskip(SKIP_2) | instid1(VALU_DEP_3)
	v_and_or_b32 v18, 0x1ff, v19, v18
	v_lshrrev_b32_e32 v21, 8, v19
	v_bfe_u32 v26, v19, 20, 11
	v_cmp_ne_u32_e64 s0, 0, v18
	s_wait_alu 0xf1ff
	s_delay_alu instid0(VALU_DEP_1) | instskip(NEXT) | instid1(VALU_DEP_1)
	v_cndmask_b32_e64 v18, 0, 1, s0
	v_and_or_b32 v18, 0xffe, v21, v18
	v_sub_nc_u32_e32 v21, 0x3f1, v26
	s_delay_alu instid0(VALU_DEP_2) | instskip(NEXT) | instid1(VALU_DEP_2)
	v_or_b32_e32 v22, 0x1000, v18
	v_med3_i32 v21, v21, 0, 13
	s_delay_alu instid0(VALU_DEP_1) | instskip(NEXT) | instid1(VALU_DEP_1)
	v_lshrrev_b32_e32 v28, v21, v22
	v_lshlrev_b32_e32 v21, v21, v28
	s_delay_alu instid0(VALU_DEP_1) | instskip(SKIP_1) | instid1(VALU_DEP_1)
	v_cmp_ne_u32_e64 s0, v21, v22
	v_cvt_f64_f32_e32 v[20:21], v20
	v_mul_f64_e32 v[20:21], s[10:11], v[20:21]
	s_delay_alu instid0(VALU_DEP_1) | instskip(SKIP_2) | instid1(VALU_DEP_3)
	v_and_or_b32 v20, 0x1ff, v21, v20
	v_lshrrev_b32_e32 v22, 8, v21
	v_bfe_u32 v30, v21, 20, 11
	v_cmp_ne_u32_e64 s1, 0, v20
	s_wait_alu 0xf1ff
	s_delay_alu instid0(VALU_DEP_1) | instskip(NEXT) | instid1(VALU_DEP_1)
	v_cndmask_b32_e64 v20, 0, 1, s1
	v_and_or_b32 v27, 0xffe, v22, v20
	v_sub_nc_u32_e32 v20, 0x3f1, v30
	s_delay_alu instid0(VALU_DEP_2) | instskip(NEXT) | instid1(VALU_DEP_2)
	v_or_b32_e32 v22, 0x1000, v27
	v_med3_i32 v20, v20, 0, 13
	s_delay_alu instid0(VALU_DEP_1) | instskip(NEXT) | instid1(VALU_DEP_1)
	v_lshrrev_b32_e32 v31, v20, v22
	v_lshlrev_b32_e32 v20, v20, v31
	s_delay_alu instid0(VALU_DEP_1) | instskip(SKIP_3) | instid1(VALU_DEP_1)
	v_cmp_ne_u32_e64 s2, v20, v22
	scratch_load_b32 v22, off, off offset:84 th:TH_LOAD_LU ; 4-byte Folded Reload
	v_lshrrev_b32_e32 v20, 16, v8
	s_wait_loadcnt 0x0
	v_mul_f16_e32 v24, v22, v20
	v_mul_f16_e32 v22, v22, v8
	s_delay_alu instid0(VALU_DEP_2) | instskip(NEXT) | instid1(VALU_DEP_2)
	v_fmac_f16_e32 v24, v23, v8
	v_fma_f16 v34, v23, v20, -v22
	v_cvt_f64_f32_e32 v[22:23], v1
	s_delay_alu instid0(VALU_DEP_1) | instskip(NEXT) | instid1(VALU_DEP_1)
	v_mul_f64_e32 v[22:23], s[10:11], v[22:23]
	v_and_or_b32 v1, 0x1ff, v23, v22
	v_lshrrev_b32_e32 v8, 8, v23
	s_delay_alu instid0(VALU_DEP_2) | instskip(SKIP_1) | instid1(VALU_DEP_1)
	v_cmp_ne_u32_e64 s1, 0, v1
	s_wait_alu 0xf1ff
	v_cndmask_b32_e64 v1, 0, 1, s1
	s_delay_alu instid0(VALU_DEP_1) | instskip(SKIP_1) | instid1(VALU_DEP_2)
	v_and_or_b32 v1, 0xffe, v8, v1
	v_bfe_u32 v8, v23, 20, 11
	v_or_b32_e32 v22, 0x1000, v1
	s_delay_alu instid0(VALU_DEP_2) | instskip(SKIP_1) | instid1(VALU_DEP_2)
	v_sub_nc_u32_e32 v20, 0x3f1, v8
	v_add_nc_u32_e32 v8, 0xfffffc10, v8
	v_med3_i32 v20, v20, 0, 13
	s_delay_alu instid0(VALU_DEP_1) | instskip(NEXT) | instid1(VALU_DEP_1)
	v_lshrrev_b32_e32 v25, v20, v22
	v_lshlrev_b32_e32 v20, v20, v25
	s_delay_alu instid0(VALU_DEP_1) | instskip(SKIP_2) | instid1(VALU_DEP_2)
	v_cmp_ne_u32_e64 s1, v20, v22
	v_lshl_or_b32 v22, v8, 12, v1
	s_wait_alu 0xf1ff
	v_cndmask_b32_e64 v20, 0, 1, s1
	v_cmp_gt_i32_e64 s1, 1, v8
	s_delay_alu instid0(VALU_DEP_2) | instskip(SKIP_1) | instid1(VALU_DEP_1)
	v_or_b32_e32 v20, v25, v20
	s_wait_alu 0xf1ff
	v_cndmask_b32_e64 v20, v22, v20, s1
	s_delay_alu instid0(VALU_DEP_1) | instskip(NEXT) | instid1(VALU_DEP_1)
	v_and_b32_e32 v22, 7, v20
	v_cmp_lt_i32_e64 s1, 5, v22
	v_cmp_eq_u32_e64 s3, 3, v22
	s_wait_alu 0xfffd
	v_cndmask_b32_e64 v22, 0, 1, vcc_lo
	v_cmp_ne_u32_e32 vcc_lo, 0, v1
	v_add_nc_u32_e32 v1, 0xfffffc10, v7
	s_or_b32 s1, s3, s1
	s_delay_alu instid0(VALU_DEP_3) | instskip(SKIP_1) | instid1(VALU_DEP_3)
	v_or_b32_e32 v13, v13, v22
	v_cmp_ne_u32_e64 s3, 0, v5
	v_lshl_or_b32 v7, v1, 12, v5
	v_cmp_gt_i32_e64 s4, 1, v1
	s_wait_alu 0xf1ff
	s_delay_alu instid0(VALU_DEP_1)
	v_cndmask_b32_e64 v7, v7, v13, s4
	v_lshrrev_b32_e32 v13, 2, v20
	s_wait_alu 0xfffd
	v_cndmask_b32_e64 v20, 0, 1, vcc_lo
	v_cmp_eq_u32_e32 vcc_lo, 0x40f, v8
	v_lshrrev_b32_e32 v5, 2, v7
	s_wait_alu 0xfffe
	v_add_co_ci_u32_e64 v13, s1, 0, v13, s1
	v_cmp_gt_i32_e64 s1, 31, v8
	v_lshl_or_b32 v20, v20, 9, 0x7c00
	s_wait_alu 0xf1ff
	s_delay_alu instid0(VALU_DEP_2) | instskip(SKIP_1) | instid1(VALU_DEP_1)
	v_cndmask_b32_e64 v13, 0x7c00, v13, s1
	s_wait_alu 0xfffd
	v_cndmask_b32_e32 v8, v13, v20, vcc_lo
	v_and_b32_e32 v20, 7, v7
	v_cndmask_b32_e64 v7, 0, 1, s3
	v_lshrrev_b32_e32 v13, 16, v23
	s_delay_alu instid0(VALU_DEP_3) | instskip(SKIP_1) | instid1(VALU_DEP_4)
	v_cmp_lt_i32_e32 vcc_lo, 5, v20
	v_cmp_eq_u32_e64 s1, 3, v20
	v_lshl_or_b32 v7, v7, 9, 0x7c00
	s_delay_alu instid0(VALU_DEP_2) | instskip(SKIP_4) | instid1(VALU_DEP_2)
	s_or_b32 vcc_lo, s1, vcc_lo
	s_wait_alu 0xfffe
	v_add_co_ci_u32_e32 v5, vcc_lo, 0, v5, vcc_lo
	v_cmp_gt_i32_e32 vcc_lo, 31, v1
	s_wait_alu 0xfffd
	v_cndmask_b32_e32 v5, 0x7c00, v5, vcc_lo
	v_cmp_eq_u32_e32 vcc_lo, 0x40f, v1
	s_wait_alu 0xfffd
	s_delay_alu instid0(VALU_DEP_2)
	v_cndmask_b32_e32 v1, v5, v7, vcc_lo
	v_lshrrev_b32_e32 v5, 16, v16
	v_and_or_b32 v7, 0x8000, v13, v8
	v_add_co_u32 v32, vcc_lo, v14, s12
	s_wait_alu 0xfffd
	v_add_co_ci_u32_e32 v33, vcc_lo, s13, v15, vcc_lo
	v_and_or_b32 v1, 0x8000, v5, v1
	v_and_b32_e32 v5, 0xffff, v7
	ds_load_2addr_b32 v[7:8], v102 offset0:112 offset1:212
	v_lshl_or_b32 v1, v1, 16, v5
	global_store_b32 v[14:15], v1, off
	scratch_load_b32 v15, off, off offset:64 th:TH_LOAD_LU ; 4-byte Folded Reload
	s_wait_dscnt 0x0
	v_lshrrev_b32_e32 v23, 16, v7
	v_mul_f16_e32 v1, v40, v7
	s_delay_alu instid0(VALU_DEP_1) | instskip(SKIP_1) | instid1(VALU_DEP_2)
	v_fma_f16 v1, v39, v23, -v1
	v_mul_f16_e32 v23, v40, v23
	v_cvt_f32_f16_e32 v1, v1
	s_delay_alu instid0(VALU_DEP_2) | instskip(NEXT) | instid1(VALU_DEP_2)
	v_fmac_f16_e32 v23, v39, v7
	v_cvt_f64_f32_e32 v[13:14], v1
	s_delay_alu instid0(VALU_DEP_2) | instskip(NEXT) | instid1(VALU_DEP_2)
	v_cvt_f32_f16_e32 v7, v23
	v_mul_f64_e32 v[13:14], s[10:11], v[13:14]
	s_delay_alu instid0(VALU_DEP_1) | instskip(SKIP_3) | instid1(VALU_DEP_4)
	v_and_or_b32 v1, 0x1ff, v14, v13
	v_lshrrev_b32_e32 v5, 8, v14
	v_bfe_u32 v20, v14, 20, 11
	v_lshrrev_b32_e32 v14, 16, v14
	v_cmp_ne_u32_e32 vcc_lo, 0, v1
	s_wait_alu 0xfffd
	v_cndmask_b32_e64 v1, 0, 1, vcc_lo
	s_delay_alu instid0(VALU_DEP_1) | instskip(SKIP_1) | instid1(VALU_DEP_2)
	v_and_or_b32 v1, 0xffe, v5, v1
	v_sub_nc_u32_e32 v5, 0x3f1, v20
	v_or_b32_e32 v13, 0x1000, v1
	s_delay_alu instid0(VALU_DEP_2) | instskip(NEXT) | instid1(VALU_DEP_1)
	v_med3_i32 v5, v5, 0, 13
	v_lshrrev_b32_e32 v22, v5, v13
	s_delay_alu instid0(VALU_DEP_1) | instskip(NEXT) | instid1(VALU_DEP_1)
	v_lshlrev_b32_e32 v5, v5, v22
	v_cmp_ne_u32_e32 vcc_lo, v5, v13
	scratch_load_b32 v13, off, off offset:68 th:TH_LOAD_LU ; 4-byte Folded Reload
	v_lshrrev_b32_e32 v5, 16, v12
	s_wait_loadcnt 0x0
	s_delay_alu instid0(VALU_DEP_1) | instskip(SKIP_1) | instid1(VALU_DEP_2)
	v_mul_f16_e32 v35, v13, v5
	v_mul_f16_e32 v13, v13, v12
	v_fmac_f16_e32 v35, v15, v12
	s_delay_alu instid0(VALU_DEP_2) | instskip(SKIP_1) | instid1(VALU_DEP_1)
	v_fma_f16 v36, v15, v5, -v13
	v_cvt_f32_f16_e32 v5, v24
	v_cvt_f64_f32_e32 v[12:13], v5
	s_delay_alu instid0(VALU_DEP_1) | instskip(NEXT) | instid1(VALU_DEP_1)
	v_mul_f64_e32 v[15:16], s[10:11], v[12:13]
	v_and_or_b32 v5, 0x1ff, v16, v15
	v_lshrrev_b32_e32 v12, 8, v16
	v_bfe_u32 v24, v16, 20, 11
	v_lshrrev_b32_e32 v16, 16, v16
	s_delay_alu instid0(VALU_DEP_4) | instskip(SKIP_1) | instid1(VALU_DEP_1)
	v_cmp_ne_u32_e64 s1, 0, v5
	s_wait_alu 0xf1ff
	v_cndmask_b32_e64 v5, 0, 1, s1
	s_delay_alu instid0(VALU_DEP_1) | instskip(SKIP_1) | instid1(VALU_DEP_2)
	v_and_or_b32 v15, 0xffe, v12, v5
	v_sub_nc_u32_e32 v5, 0x3f1, v24
	v_or_b32_e32 v12, 0x1000, v15
	s_delay_alu instid0(VALU_DEP_2) | instskip(NEXT) | instid1(VALU_DEP_1)
	v_med3_i32 v5, v5, 0, 13
	v_lshrrev_b32_e32 v25, v5, v12
	s_delay_alu instid0(VALU_DEP_1) | instskip(NEXT) | instid1(VALU_DEP_1)
	v_lshlrev_b32_e32 v5, v5, v25
	v_cmp_ne_u32_e64 s1, v5, v12
	v_mul_f16_e32 v5, v38, v29
	s_delay_alu instid0(VALU_DEP_1) | instskip(NEXT) | instid1(VALU_DEP_1)
	v_fmac_f16_e32 v5, v37, v9
	v_cvt_f32_f16_e32 v5, v5
	s_delay_alu instid0(VALU_DEP_1) | instskip(NEXT) | instid1(VALU_DEP_1)
	v_cvt_f64_f32_e32 v[12:13], v5
	v_mul_f64_e32 v[12:13], s[10:11], v[12:13]
	s_delay_alu instid0(VALU_DEP_1) | instskip(SKIP_1) | instid1(VALU_DEP_2)
	v_and_or_b32 v5, 0x1ff, v13, v12
	v_lshrrev_b32_e32 v9, 8, v13
	v_cmp_ne_u32_e64 s3, 0, v5
	s_wait_alu 0xf1ff
	s_delay_alu instid0(VALU_DEP_1) | instskip(NEXT) | instid1(VALU_DEP_1)
	v_cndmask_b32_e64 v5, 0, 1, s3
	v_and_or_b32 v5, 0xffe, v9, v5
	v_bfe_u32 v9, v13, 20, 11
	s_delay_alu instid0(VALU_DEP_2) | instskip(NEXT) | instid1(VALU_DEP_2)
	v_or_b32_e32 v29, 0x1000, v5
	v_sub_nc_u32_e32 v12, 0x3f1, v9
	v_add_nc_u32_e32 v9, 0xfffffc10, v9
	s_delay_alu instid0(VALU_DEP_2) | instskip(NEXT) | instid1(VALU_DEP_1)
	v_med3_i32 v12, v12, 0, 13
	v_lshrrev_b32_e32 v37, v12, v29
	s_delay_alu instid0(VALU_DEP_1) | instskip(NEXT) | instid1(VALU_DEP_1)
	v_lshlrev_b32_e32 v12, v12, v37
	v_cmp_ne_u32_e64 s3, v12, v29
	v_lshl_or_b32 v29, v9, 12, v5
	s_wait_alu 0xf1ff
	s_delay_alu instid0(VALU_DEP_2) | instskip(SKIP_1) | instid1(VALU_DEP_2)
	v_cndmask_b32_e64 v12, 0, 1, s3
	v_cmp_gt_i32_e64 s3, 1, v9
	v_or_b32_e32 v12, v37, v12
	s_wait_alu 0xf1ff
	s_delay_alu instid0(VALU_DEP_1) | instskip(NEXT) | instid1(VALU_DEP_1)
	v_cndmask_b32_e64 v12, v29, v12, s3
	v_and_b32_e32 v29, 7, v12
	v_lshrrev_b32_e32 v12, 2, v12
	s_delay_alu instid0(VALU_DEP_2) | instskip(SKIP_4) | instid1(VALU_DEP_4)
	v_cmp_lt_i32_e64 s3, 5, v29
	v_cmp_eq_u32_e64 s4, 3, v29
	v_cndmask_b32_e64 v29, 0, 1, s0
	v_cmp_ne_u32_e64 s0, 0, v5
	v_add_nc_u32_e32 v5, 0xfffffc10, v26
	s_or_b32 s3, s4, s3
	s_delay_alu instid0(VALU_DEP_3)
	v_or_b32_e32 v28, v28, v29
	s_wait_alu 0xfffe
	v_add_co_ci_u32_e64 v12, s3, 0, v12, s3
	v_lshl_or_b32 v26, v5, 12, v18
	v_cmp_gt_i32_e64 s5, 1, v5
	v_cmp_gt_i32_e64 s3, 31, v9
	v_cmp_ne_u32_e64 s4, 0, v18
	s_wait_alu 0xf1ff
	s_delay_alu instid0(VALU_DEP_3) | instskip(SKIP_4) | instid1(VALU_DEP_4)
	v_cndmask_b32_e64 v26, v26, v28, s5
	v_cndmask_b32_e64 v28, 0, 1, s0
	;; [unrolled: 1-line block ×3, first 2 shown]
	v_cmp_eq_u32_e64 s0, 0x40f, v9
	v_cndmask_b32_e64 v18, 0, 1, s4
	v_lshl_or_b32 v28, v28, 9, 0x7c00
	s_delay_alu instid0(VALU_DEP_2) | instskip(SKIP_1) | instid1(VALU_DEP_2)
	v_lshl_or_b32 v18, v18, 9, 0x7c00
	s_wait_alu 0xf1ff
	v_cndmask_b32_e64 v9, v12, v28, s0
	v_lshrrev_b32_e32 v12, 16, v13
	v_and_b32_e32 v13, 7, v26
	s_delay_alu instid0(VALU_DEP_2) | instskip(NEXT) | instid1(VALU_DEP_2)
	v_and_or_b32 v9, 0x8000, v12, v9
	v_cmp_lt_i32_e64 s0, 5, v13
	v_cmp_eq_u32_e64 s3, 3, v13
	v_lshrrev_b32_e32 v13, 2, v26
	s_delay_alu instid0(VALU_DEP_4) | instskip(NEXT) | instid1(VALU_DEP_3)
	v_and_b32_e32 v9, 0xffff, v9
	s_or_b32 s0, s3, s0
	s_wait_alu 0xfffe
	s_delay_alu instid0(VALU_DEP_2) | instskip(SKIP_2) | instid1(VALU_DEP_1)
	v_add_co_ci_u32_e64 v13, s0, 0, v13, s0
	v_cmp_gt_i32_e64 s0, 31, v5
	s_wait_alu 0xf1ff
	v_cndmask_b32_e64 v13, 0x7c00, v13, s0
	v_cmp_eq_u32_e64 s0, 0x40f, v5
	s_wait_alu 0xf1ff
	s_delay_alu instid0(VALU_DEP_1) | instskip(SKIP_3) | instid1(VALU_DEP_3)
	v_cndmask_b32_e64 v5, v13, v18, s0
	v_lshrrev_b32_e32 v13, 16, v19
	v_cvt_f64_f32_e32 v[18:19], v3
	v_add_co_u32 v12, s0, v32, s12
	v_and_or_b32 v5, 0x8000, v13, v5
	s_wait_alu 0xf1ff
	v_add_co_ci_u32_e64 v13, s0, s13, v33, s0
	s_delay_alu instid0(VALU_DEP_2) | instskip(SKIP_2) | instid1(VALU_DEP_1)
	v_lshl_or_b32 v5, v5, 16, v9
	global_store_b32 v[32:33], v5, off
	v_mul_f64_e32 v[18:19], s[10:11], v[18:19]
	v_and_or_b32 v3, 0x1ff, v19, v18
	v_lshrrev_b32_e32 v5, 8, v19
	s_delay_alu instid0(VALU_DEP_2) | instskip(SKIP_1) | instid1(VALU_DEP_1)
	v_cmp_ne_u32_e64 s0, 0, v3
	s_wait_alu 0xf1ff
	v_cndmask_b32_e64 v3, 0, 1, s0
	s_delay_alu instid0(VALU_DEP_1) | instskip(SKIP_1) | instid1(VALU_DEP_2)
	v_and_or_b32 v3, 0xffe, v5, v3
	v_bfe_u32 v5, v19, 20, 11
	v_or_b32_e32 v18, 0x1000, v3
	s_delay_alu instid0(VALU_DEP_2) | instskip(SKIP_2) | instid1(VALU_DEP_3)
	v_sub_nc_u32_e32 v9, 0x3f1, v5
	v_add_nc_u32_e32 v5, 0xfffffc10, v5
	v_cmp_ne_u32_e64 s3, 0, v3
	v_med3_i32 v9, v9, 0, 13
	s_delay_alu instid0(VALU_DEP_1) | instskip(NEXT) | instid1(VALU_DEP_1)
	v_lshrrev_b32_e32 v26, v9, v18
	v_lshlrev_b32_e32 v9, v9, v26
	s_delay_alu instid0(VALU_DEP_1) | instskip(SKIP_2) | instid1(VALU_DEP_2)
	v_cmp_ne_u32_e64 s0, v9, v18
	v_lshl_or_b32 v18, v5, 12, v3
	s_wait_alu 0xf1ff
	v_cndmask_b32_e64 v9, 0, 1, s0
	v_cmp_gt_i32_e64 s0, 1, v5
	s_delay_alu instid0(VALU_DEP_2) | instskip(SKIP_2) | instid1(VALU_DEP_2)
	v_or_b32_e32 v9, v26, v9
	v_add_nc_u32_e32 v26, 0xfffffc10, v30
	s_wait_alu 0xf1ff
	v_cndmask_b32_e64 v9, v18, v9, s0
	v_cndmask_b32_e64 v18, 0, 1, s2
	s_delay_alu instid0(VALU_DEP_3) | instskip(SKIP_1) | instid1(VALU_DEP_3)
	v_lshl_or_b32 v28, v26, 12, v27
	v_cmp_gt_i32_e64 s0, 1, v26
	v_or_b32_e32 v18, v31, v18
	s_wait_alu 0xf1ff
	s_delay_alu instid0(VALU_DEP_1) | instskip(SKIP_1) | instid1(VALU_DEP_2)
	v_cndmask_b32_e64 v18, v28, v18, s0
	v_and_b32_e32 v28, 7, v9
	v_and_b32_e32 v3, 7, v18
	s_delay_alu instid0(VALU_DEP_2) | instskip(SKIP_1) | instid1(VALU_DEP_3)
	v_cmp_lt_i32_e64 s0, 5, v28
	v_cmp_eq_u32_e64 s2, 3, v28
	v_cmp_lt_i32_e64 s4, 5, v3
	v_cmp_eq_u32_e64 s5, 3, v3
	v_lshrrev_b32_e32 v3, 2, v9
	s_delay_alu instid0(VALU_DEP_4) | instskip(SKIP_1) | instid1(VALU_DEP_3)
	s_or_b32 s0, s2, s0
	v_cndmask_b32_e64 v9, 0, 1, s3
	s_or_b32 s2, s5, s4
	s_wait_alu 0xfffe
	v_add_co_ci_u32_e64 v3, s0, 0, v3, s0
	v_cmp_gt_i32_e64 s0, 31, v5
	v_lshl_or_b32 v9, v9, 9, 0x7c00
	s_wait_alu 0xf1ff
	s_delay_alu instid0(VALU_DEP_2) | instskip(SKIP_3) | instid1(VALU_DEP_2)
	v_cndmask_b32_e64 v3, 0x7c00, v3, s0
	v_cmp_eq_u32_e64 s0, 0x40f, v5
	v_lshrrev_b32_e32 v5, 16, v19
	s_wait_alu 0xf1ff
	v_cndmask_b32_e64 v3, v3, v9, s0
	v_lshrrev_b32_e32 v9, 2, v18
	v_cmp_ne_u32_e64 s0, 0, v27
	s_delay_alu instid0(VALU_DEP_3) | instskip(NEXT) | instid1(VALU_DEP_3)
	v_and_or_b32 v3, 0x8000, v5, v3
	v_add_co_ci_u32_e64 v9, s2, 0, v9, s2
	v_cmp_gt_i32_e64 s2, 31, v26
	s_wait_alu 0xf1ff
	v_cndmask_b32_e64 v18, 0, 1, s0
	v_cmp_eq_u32_e64 s0, 0x40f, v26
	v_and_b32_e32 v3, 0xffff, v3
	v_cndmask_b32_e64 v9, 0x7c00, v9, s2
	s_delay_alu instid0(VALU_DEP_4) | instskip(SKIP_1) | instid1(VALU_DEP_1)
	v_lshl_or_b32 v18, v18, 9, 0x7c00
	s_wait_alu 0xf1ff
	v_cndmask_b32_e64 v9, v9, v18, s0
	v_lshrrev_b32_e32 v18, 16, v21
	v_add_co_u32 v28, s0, v12, s12
	s_wait_alu 0xf1ff
	v_add_co_ci_u32_e64 v29, s0, s13, v13, s0
	s_delay_alu instid0(VALU_DEP_3) | instskip(NEXT) | instid1(VALU_DEP_1)
	v_and_or_b32 v5, 0x8000, v18, v9
	v_lshl_or_b32 v3, v5, 16, v3
	global_store_b32 v[12:13], v3, off
	v_cvt_f32_f16_e32 v3, v34
	s_delay_alu instid0(VALU_DEP_1) | instskip(NEXT) | instid1(VALU_DEP_1)
	v_cvt_f64_f32_e32 v[12:13], v3
	v_mul_f64_e32 v[30:31], s[10:11], v[12:13]
	s_clause 0x1
	scratch_load_b32 v12, off, off offset:56 th:TH_LOAD_LU
	scratch_load_b32 v13, off, off offset:48 th:TH_LOAD_LU
	v_and_or_b32 v3, 0x1ff, v31, v30
	v_lshrrev_b32_e32 v5, 8, v31
	v_bfe_u32 v34, v31, 20, 11
	s_delay_alu instid0(VALU_DEP_3) | instskip(SKIP_1) | instid1(VALU_DEP_1)
	v_cmp_ne_u32_e64 s0, 0, v3
	s_wait_alu 0xf1ff
	v_cndmask_b32_e64 v3, 0, 1, s0
	s_delay_alu instid0(VALU_DEP_1) | instskip(SKIP_1) | instid1(VALU_DEP_2)
	v_and_or_b32 v30, 0xffe, v5, v3
	v_sub_nc_u32_e32 v3, 0x3f1, v34
	v_or_b32_e32 v5, 0x1000, v30
	s_delay_alu instid0(VALU_DEP_2) | instskip(NEXT) | instid1(VALU_DEP_1)
	v_med3_i32 v3, v3, 0, 13
	v_lshrrev_b32_e32 v37, v3, v5
	s_delay_alu instid0(VALU_DEP_1) | instskip(NEXT) | instid1(VALU_DEP_1)
	v_lshlrev_b32_e32 v3, v3, v37
	v_cmp_ne_u32_e64 s4, v3, v5
	scratch_load_b32 v5, off, off offset:60 th:TH_LOAD_LU ; 4-byte Folded Reload
	v_lshrrev_b32_e32 v3, 16, v6
	s_wait_loadcnt 0x0
	s_delay_alu instid0(VALU_DEP_1) | instskip(SKIP_1) | instid1(VALU_DEP_2)
	v_mul_f16_e32 v9, v5, v3
	v_mul_f16_e32 v5, v5, v6
	v_fmac_f16_e32 v9, v12, v6
	s_delay_alu instid0(VALU_DEP_2) | instskip(SKIP_1) | instid1(VALU_DEP_1)
	v_fma_f16 v38, v12, v3, -v5
	v_cvt_f32_f16_e32 v3, v35
	v_cvt_f64_f32_e32 v[5:6], v3
	s_delay_alu instid0(VALU_DEP_1) | instskip(NEXT) | instid1(VALU_DEP_1)
	v_mul_f64_e32 v[18:19], s[10:11], v[5:6]
	v_and_or_b32 v3, 0x1ff, v19, v18
	v_lshrrev_b32_e32 v5, 8, v19
	v_bfe_u32 v21, v19, 20, 11
	s_delay_alu instid0(VALU_DEP_3) | instskip(SKIP_1) | instid1(VALU_DEP_1)
	v_cmp_ne_u32_e64 s0, 0, v3
	s_wait_alu 0xf1ff
	v_cndmask_b32_e64 v3, 0, 1, s0
	s_delay_alu instid0(VALU_DEP_1) | instskip(SKIP_1) | instid1(VALU_DEP_2)
	v_and_or_b32 v3, 0xffe, v5, v3
	v_sub_nc_u32_e32 v5, 0x3f1, v21
	v_or_b32_e32 v6, 0x1000, v3
	s_delay_alu instid0(VALU_DEP_2) | instskip(NEXT) | instid1(VALU_DEP_1)
	v_med3_i32 v5, v5, 0, 13
	v_lshrrev_b32_e32 v26, v5, v6
	s_delay_alu instid0(VALU_DEP_1) | instskip(NEXT) | instid1(VALU_DEP_1)
	v_lshlrev_b32_e32 v5, v5, v26
	v_cmp_ne_u32_e64 s2, v5, v6
	v_cvt_f32_f16_e32 v5, v36
	s_delay_alu instid0(VALU_DEP_1) | instskip(NEXT) | instid1(VALU_DEP_1)
	v_cvt_f64_f32_e32 v[5:6], v5
	v_mul_f64_e32 v[5:6], s[10:11], v[5:6]
	s_delay_alu instid0(VALU_DEP_1) | instskip(SKIP_2) | instid1(VALU_DEP_3)
	v_and_or_b32 v5, 0x1ff, v6, v5
	v_lshrrev_b32_e32 v12, 8, v6
	v_bfe_u32 v27, v6, 20, 11
	v_cmp_ne_u32_e64 s0, 0, v5
	s_wait_alu 0xf1ff
	s_delay_alu instid0(VALU_DEP_1) | instskip(NEXT) | instid1(VALU_DEP_1)
	v_cndmask_b32_e64 v5, 0, 1, s0
	v_and_or_b32 v18, 0xffe, v12, v5
	v_sub_nc_u32_e32 v5, 0x3f1, v27
	s_delay_alu instid0(VALU_DEP_2) | instskip(NEXT) | instid1(VALU_DEP_2)
	v_or_b32_e32 v12, 0x1000, v18
	v_med3_i32 v5, v5, 0, 13
	s_delay_alu instid0(VALU_DEP_1) | instskip(NEXT) | instid1(VALU_DEP_1)
	v_lshrrev_b32_e32 v35, v5, v12
	v_lshlrev_b32_e32 v5, v5, v35
	s_delay_alu instid0(VALU_DEP_1) | instskip(SKIP_3) | instid1(VALU_DEP_1)
	v_cmp_ne_u32_e64 s3, v5, v12
	scratch_load_b32 v12, off, off offset:52 th:TH_LOAD_LU ; 4-byte Folded Reload
	v_lshrrev_b32_e32 v5, 16, v17
	s_wait_loadcnt 0x0
	v_mul_f16_e32 v36, v12, v5
	v_mul_f16_e32 v12, v12, v17
	s_delay_alu instid0(VALU_DEP_2) | instskip(NEXT) | instid1(VALU_DEP_2)
	v_fmac_f16_e32 v36, v13, v17
	v_fma_f16 v17, v13, v5, -v12
	v_cvt_f32_f16_e32 v5, v9
	s_delay_alu instid0(VALU_DEP_1) | instskip(NEXT) | instid1(VALU_DEP_1)
	v_cvt_f64_f32_e32 v[12:13], v5
	v_mul_f64_e32 v[12:13], s[10:11], v[12:13]
	s_delay_alu instid0(VALU_DEP_1) | instskip(SKIP_1) | instid1(VALU_DEP_2)
	v_and_or_b32 v5, 0x1ff, v13, v12
	v_lshrrev_b32_e32 v9, 8, v13
	v_cmp_ne_u32_e64 s0, 0, v5
	s_wait_alu 0xf1ff
	s_delay_alu instid0(VALU_DEP_1) | instskip(NEXT) | instid1(VALU_DEP_1)
	v_cndmask_b32_e64 v5, 0, 1, s0
	v_and_or_b32 v5, 0xffe, v9, v5
	v_bfe_u32 v9, v13, 20, 11
	s_delay_alu instid0(VALU_DEP_2) | instskip(NEXT) | instid1(VALU_DEP_2)
	v_or_b32_e32 v33, 0x1000, v5
	v_sub_nc_u32_e32 v12, 0x3f1, v9
	v_add_nc_u32_e32 v9, 0xfffffc10, v9
	s_delay_alu instid0(VALU_DEP_2) | instskip(NEXT) | instid1(VALU_DEP_1)
	v_med3_i32 v32, v12, 0, 13
	v_lshrrev_b32_e32 v12, v32, v33
	s_delay_alu instid0(VALU_DEP_1) | instskip(NEXT) | instid1(VALU_DEP_1)
	v_lshlrev_b32_e32 v32, v32, v12
	v_cmp_ne_u32_e64 s0, v32, v33
	v_cvt_f64_f32_e32 v[32:33], v7
	s_delay_alu instid0(VALU_DEP_1) | instskip(NEXT) | instid1(VALU_DEP_1)
	v_mul_f64_e32 v[32:33], s[10:11], v[32:33]
	v_and_or_b32 v7, 0x1ff, v33, v32
	v_lshrrev_b32_e32 v23, 8, v33
	s_delay_alu instid0(VALU_DEP_2) | instskip(SKIP_1) | instid1(VALU_DEP_1)
	v_cmp_ne_u32_e64 s5, 0, v7
	s_wait_alu 0xf1ff
	v_cndmask_b32_e64 v7, 0, 1, s5
	s_delay_alu instid0(VALU_DEP_1) | instskip(SKIP_1) | instid1(VALU_DEP_2)
	v_and_or_b32 v7, 0xffe, v23, v7
	v_bfe_u32 v23, v33, 20, 11
	v_or_b32_e32 v39, 0x1000, v7
	s_delay_alu instid0(VALU_DEP_2) | instskip(SKIP_1) | instid1(VALU_DEP_2)
	v_sub_nc_u32_e32 v32, 0x3f1, v23
	v_add_nc_u32_e32 v23, 0xfffffc10, v23
	v_med3_i32 v32, v32, 0, 13
	s_delay_alu instid0(VALU_DEP_1) | instskip(NEXT) | instid1(VALU_DEP_1)
	v_lshrrev_b32_e32 v40, v32, v39
	v_lshlrev_b32_e32 v32, v32, v40
	s_delay_alu instid0(VALU_DEP_1) | instskip(SKIP_2) | instid1(VALU_DEP_2)
	v_cmp_ne_u32_e64 s5, v32, v39
	v_lshl_or_b32 v39, v23, 12, v7
	s_wait_alu 0xf1ff
	v_cndmask_b32_e64 v32, 0, 1, s5
	v_cmp_gt_i32_e64 s5, 1, v23
	s_delay_alu instid0(VALU_DEP_2) | instskip(SKIP_1) | instid1(VALU_DEP_1)
	v_or_b32_e32 v32, v40, v32
	s_wait_alu 0xf1ff
	v_cndmask_b32_e64 v32, v39, v32, s5
	s_delay_alu instid0(VALU_DEP_1) | instskip(NEXT) | instid1(VALU_DEP_1)
	v_and_b32_e32 v39, 7, v32
	v_cmp_lt_i32_e64 s5, 5, v39
	v_cmp_eq_u32_e64 s6, 3, v39
	s_wait_alu 0xfffd
	v_cndmask_b32_e64 v39, 0, 1, vcc_lo
	v_cmp_ne_u32_e32 vcc_lo, 0, v7
	v_add_nc_u32_e32 v7, 0xfffffc10, v20
	s_or_b32 s5, s6, s5
	s_delay_alu instid0(VALU_DEP_3) | instskip(SKIP_1) | instid1(VALU_DEP_3)
	v_or_b32_e32 v22, v22, v39
	v_cmp_ne_u32_e64 s6, 0, v1
	v_lshl_or_b32 v20, v7, 12, v1
	v_cmp_gt_i32_e64 s7, 1, v7
	v_lshrrev_b32_e32 v1, 16, v33
	s_wait_alu 0xf1ff
	s_delay_alu instid0(VALU_DEP_2)
	v_cndmask_b32_e64 v20, v20, v22, s7
	v_lshrrev_b32_e32 v22, 2, v32
	s_wait_alu 0xfffd
	v_cndmask_b32_e64 v32, 0, 1, vcc_lo
	v_cmp_eq_u32_e32 vcc_lo, 0x40f, v23
	s_wait_alu 0xfffe
	v_add_co_ci_u32_e64 v22, s5, 0, v22, s5
	v_cmp_gt_i32_e64 s5, 31, v23
	v_lshl_or_b32 v32, v32, 9, 0x7c00
	v_and_b32_e32 v23, 7, v20
	v_lshrrev_b32_e32 v20, 2, v20
	s_wait_alu 0xf1ff
	v_cndmask_b32_e64 v22, 0x7c00, v22, s5
	s_delay_alu instid0(VALU_DEP_3) | instskip(SKIP_1) | instid1(VALU_DEP_2)
	v_cmp_eq_u32_e64 s5, 3, v23
	s_wait_alu 0xfffd
	v_cndmask_b32_e32 v22, v22, v32, vcc_lo
	v_cmp_lt_i32_e32 vcc_lo, 5, v23
	v_cndmask_b32_e64 v23, 0, 1, s6
	s_delay_alu instid0(VALU_DEP_3) | instskip(SKIP_1) | instid1(VALU_DEP_2)
	v_and_or_b32 v1, 0x8000, v1, v22
	s_or_b32 vcc_lo, s5, vcc_lo
	v_lshl_or_b32 v23, v23, 9, 0x7c00
	s_wait_alu 0xfffe
	v_add_co_ci_u32_e32 v20, vcc_lo, 0, v20, vcc_lo
	v_cmp_gt_i32_e32 vcc_lo, 31, v7
	v_and_b32_e32 v1, 0xffff, v1
	s_wait_alu 0xfffd
	s_delay_alu instid0(VALU_DEP_3) | instskip(SKIP_2) | instid1(VALU_DEP_2)
	v_cndmask_b32_e32 v20, 0x7c00, v20, vcc_lo
	v_cmp_eq_u32_e32 vcc_lo, 0x40f, v7
	s_wait_alu 0xfffd
	v_dual_cndmask_b32 v7, v20, v23 :: v_dual_add_nc_u32 v20, 0xfffffc10, v24
	scratch_load_b32 v24, off, off offset:44 th:TH_LOAD_LU ; 4-byte Folded Reload
	v_and_or_b32 v7, 0x8000, v14, v7
	v_cndmask_b32_e64 v14, 0, 1, s1
	v_lshl_or_b32 v22, v20, 12, v15
	v_cmp_gt_i32_e32 vcc_lo, 1, v20
	s_delay_alu instid0(VALU_DEP_4) | instskip(NEXT) | instid1(VALU_DEP_4)
	v_lshl_or_b32 v1, v7, 16, v1
	v_or_b32_e32 v14, v25, v14
	scratch_load_b32 v25, off, off offset:40 th:TH_LOAD_LU ; 4-byte Folded Reload
	global_store_b32 v[28:29], v1, off
	s_wait_alu 0xfffd
	v_cndmask_b32_e32 v14, v22, v14, vcc_lo
	s_delay_alu instid0(VALU_DEP_1) | instskip(SKIP_1) | instid1(VALU_DEP_2)
	v_and_b32_e32 v7, 7, v14
	v_lshrrev_b32_e32 v14, 2, v14
	v_cmp_lt_i32_e32 vcc_lo, 5, v7
	v_cmp_eq_u32_e64 s1, 3, v7
	v_cndmask_b32_e64 v7, 0, 1, s4
	v_cmp_ne_u32_e64 s4, 0, v15
	v_add_nc_u32_e32 v15, 0xfffffc10, v34
	s_delay_alu instid0(VALU_DEP_4) | instskip(NEXT) | instid1(VALU_DEP_3)
	s_or_b32 vcc_lo, s1, vcc_lo
	v_or_b32_e32 v7, v37, v7
	s_wait_alu 0xfffe
	v_add_co_ci_u32_e32 v14, vcc_lo, 0, v14, vcc_lo
	v_lshl_or_b32 v22, v15, 12, v30
	v_cmp_gt_i32_e64 s5, 1, v15
	v_cmp_gt_i32_e32 vcc_lo, 31, v20
	s_wait_alu 0xf1ff
	s_delay_alu instid0(VALU_DEP_2)
	v_cndmask_b32_e64 v7, v22, v7, s5
	v_cndmask_b32_e64 v22, 0, 1, s4
	s_wait_alu 0xfffd
	v_cndmask_b32_e32 v14, 0x7c00, v14, vcc_lo
	v_cmp_eq_u32_e32 vcc_lo, 0x40f, v20
	v_cmp_ne_u32_e64 s4, 0, v30
	v_and_b32_e32 v20, 7, v7
	v_lshl_or_b32 v22, v22, 9, 0x7c00
	v_lshrrev_b32_e32 v7, 2, v7
	s_delay_alu instid0(VALU_DEP_3) | instskip(SKIP_1) | instid1(VALU_DEP_3)
	v_cmp_eq_u32_e64 s1, 3, v20
	s_wait_alu 0xfffd
	v_cndmask_b32_e32 v14, v14, v22, vcc_lo
	v_cmp_lt_i32_e32 vcc_lo, 5, v20
	s_wait_alu 0xf1ff
	v_cndmask_b32_e64 v20, 0, 1, s4
	s_delay_alu instid0(VALU_DEP_3) | instskip(SKIP_1) | instid1(VALU_DEP_2)
	v_and_or_b32 v14, 0x8000, v16, v14
	s_or_b32 vcc_lo, s1, vcc_lo
	v_lshl_or_b32 v20, v20, 9, 0x7c00
	s_wait_alu 0xfffe
	v_add_co_ci_u32_e32 v7, vcc_lo, 0, v7, vcc_lo
	v_cmp_gt_i32_e32 vcc_lo, 31, v15
	s_wait_alu 0xfffd
	s_delay_alu instid0(VALU_DEP_2) | instskip(SKIP_3) | instid1(VALU_DEP_3)
	v_cndmask_b32_e32 v7, 0x7c00, v7, vcc_lo
	v_cmp_eq_u32_e32 vcc_lo, 0x40f, v15
	v_lshrrev_b32_e32 v15, 16, v31
	s_wait_alu 0xfffd
	v_cndmask_b32_e32 v7, v7, v20, vcc_lo
	s_delay_alu instid0(VALU_DEP_1)
	v_and_or_b32 v1, 0x8000, v15, v7
	v_and_b32_e32 v7, 0xffff, v14
	v_mad_co_u64_u32 v[14:15], null, 0xffffd760, s8, v[28:29]
	scratch_load_b32 v29, off, off offset:12 th:TH_LOAD_LU ; 4-byte Folded Reload
	v_lshl_or_b32 v1, v1, 16, v7
	v_add_nc_u32_e32 v15, s9, v15
	global_store_b32 v[14:15], v1, off
	v_cvt_f32_f16_e32 v1, v38
	v_add_co_u32 v14, vcc_lo, v14, s12
	s_wait_alu 0xfffd
	v_add_co_ci_u32_e32 v15, vcc_lo, s13, v15, vcc_lo
	s_delay_alu instid0(VALU_DEP_3) | instskip(NEXT) | instid1(VALU_DEP_1)
	v_cvt_f64_f32_e32 v[22:23], v1
	v_mul_f64_e32 v[22:23], s[10:11], v[22:23]
	s_delay_alu instid0(VALU_DEP_1) | instskip(SKIP_3) | instid1(VALU_DEP_4)
	v_and_or_b32 v1, 0x1ff, v23, v22
	v_lshrrev_b32_e32 v7, 8, v23
	v_bfe_u32 v16, v23, 20, 11
	v_lshrrev_b32_e32 v23, 16, v23
	v_cmp_ne_u32_e32 vcc_lo, 0, v1
	s_wait_alu 0xfffd
	v_cndmask_b32_e64 v1, 0, 1, vcc_lo
	s_delay_alu instid0(VALU_DEP_1) | instskip(SKIP_1) | instid1(VALU_DEP_2)
	v_and_or_b32 v1, 0xffe, v7, v1
	v_sub_nc_u32_e32 v7, 0x3f1, v16
	v_or_b32_e32 v20, 0x1000, v1
	s_delay_alu instid0(VALU_DEP_2) | instskip(NEXT) | instid1(VALU_DEP_1)
	v_med3_i32 v7, v7, 0, 13
	v_lshrrev_b32_e32 v22, v7, v20
	s_delay_alu instid0(VALU_DEP_1) | instskip(NEXT) | instid1(VALU_DEP_1)
	v_lshlrev_b32_e32 v7, v7, v22
	v_cmp_ne_u32_e32 vcc_lo, v7, v20
	v_lshrrev_b32_e32 v7, 16, v4
	s_wait_loadcnt 0x2
	s_delay_alu instid0(VALU_DEP_1) | instskip(SKIP_2) | instid1(VALU_DEP_2)
	v_mul_f16_e32 v20, v24, v7
	v_mul_f16_e32 v24, v24, v4
	s_wait_loadcnt 0x1
	v_fmac_f16_e32 v20, v25, v4
	v_cvt_f32_f16_e32 v4, v36
	s_delay_alu instid0(VALU_DEP_3) | instskip(NEXT) | instid1(VALU_DEP_2)
	v_fma_f16 v28, v25, v7, -v24
	v_cvt_f64_f32_e32 v[24:25], v4
	s_delay_alu instid0(VALU_DEP_1) | instskip(NEXT) | instid1(VALU_DEP_1)
	v_mul_f64_e32 v[24:25], s[10:11], v[24:25]
	v_and_or_b32 v4, 0x1ff, v25, v24
	v_lshrrev_b32_e32 v7, 8, v25
	s_delay_alu instid0(VALU_DEP_2) | instskip(SKIP_1) | instid1(VALU_DEP_1)
	v_cmp_ne_u32_e64 s1, 0, v4
	s_wait_alu 0xf1ff
	v_cndmask_b32_e64 v4, 0, 1, s1
	s_delay_alu instid0(VALU_DEP_1) | instskip(SKIP_2) | instid1(VALU_DEP_2)
	v_and_or_b32 v24, 0xffe, v7, v4
	v_cndmask_b32_e64 v4, 0, 1, s2
	v_add_nc_u32_e32 v7, 0xfffffc10, v21
	v_or_b32_e32 v4, v26, v4
	s_delay_alu instid0(VALU_DEP_2) | instskip(SKIP_3) | instid1(VALU_DEP_2)
	v_lshl_or_b32 v21, v7, 12, v3
	v_cmp_gt_i32_e64 s1, 1, v7
	v_add_nc_u32_e32 v26, 0xfffffc10, v27
	s_wait_alu 0xf1ff
	v_cndmask_b32_e64 v4, v21, v4, s1
	v_cndmask_b32_e64 v21, 0, 1, s3
	s_delay_alu instid0(VALU_DEP_3) | instskip(SKIP_2) | instid1(VALU_DEP_4)
	v_lshl_or_b32 v27, v26, 12, v18
	v_cmp_gt_i32_e64 s1, 1, v26
	v_cmp_ne_u32_e64 s3, 0, v3
	v_or_b32_e32 v21, v35, v21
	s_wait_alu 0xf1ff
	s_delay_alu instid0(VALU_DEP_1) | instskip(SKIP_1) | instid1(VALU_DEP_2)
	v_cndmask_b32_e64 v21, v27, v21, s1
	v_and_b32_e32 v27, 7, v4
	v_and_b32_e32 v3, 7, v21
	s_delay_alu instid0(VALU_DEP_2) | instskip(SKIP_2) | instid1(VALU_DEP_4)
	v_cmp_lt_i32_e64 s1, 5, v27
	v_cmp_eq_u32_e64 s2, 3, v27
	v_lshrrev_b32_e32 v27, 16, v19
	v_cmp_lt_i32_e64 s4, 5, v3
	v_cmp_eq_u32_e64 s5, 3, v3
	v_lshrrev_b32_e32 v3, 2, v4
	s_or_b32 s1, s2, s1
	v_cndmask_b32_e64 v4, 0, 1, s3
	s_delay_alu instid0(VALU_DEP_3)
	s_or_b32 s2, s5, s4
	s_wait_alu 0xfffe
	v_add_co_ci_u32_e64 v3, s1, 0, v3, s1
	v_cmp_gt_i32_e64 s1, 31, v7
	v_lshl_or_b32 v4, v4, 9, 0x7c00
	s_wait_alu 0xf1ff
	s_delay_alu instid0(VALU_DEP_2) | instskip(SKIP_2) | instid1(VALU_DEP_1)
	v_cndmask_b32_e64 v3, 0x7c00, v3, s1
	v_cmp_eq_u32_e64 s1, 0x40f, v7
	s_wait_alu 0xf1ff
	v_cndmask_b32_e64 v7, v3, v4, s1
	v_lshrrev_b32_e32 v3, 2, v21
	v_cmp_ne_u32_e64 s1, 0, v18
	v_cvt_f32_f16_e32 v18, v20
	v_bfe_u32 v21, v25, 20, 11
	v_lshrrev_b32_e32 v25, 16, v25
	v_add_co_ci_u32_e64 v3, s2, 0, v3, s2
	v_cmp_gt_i32_e64 s2, 31, v26
	s_wait_alu 0xf1ff
	v_cndmask_b32_e64 v4, 0, 1, s1
	v_cmp_eq_u32_e64 s1, 0x40f, v26
	s_delay_alu instid0(VALU_DEP_3) | instskip(NEXT) | instid1(VALU_DEP_3)
	v_cndmask_b32_e64 v3, 0x7c00, v3, s2
	v_lshl_or_b32 v4, v4, 9, 0x7c00
	s_wait_alu 0xf1ff
	s_delay_alu instid0(VALU_DEP_1) | instskip(SKIP_1) | instid1(VALU_DEP_1)
	v_cndmask_b32_e64 v20, v3, v4, s1
	v_cvt_f64_f32_e32 v[3:4], v18
	v_mul_f64_e32 v[18:19], s[10:11], v[3:4]
	v_lshrrev_b32_e32 v3, 16, v6
	v_sub_nc_u32_e32 v6, 0x3f1, v21
	v_and_or_b32 v4, 0x8000, v27, v7
	v_or_b32_e32 v7, 0x1000, v24
	scratch_load_b32 v27, off, off offset:32 th:TH_LOAD_LU ; 4-byte Folded Reload
	v_and_or_b32 v3, 0x8000, v3, v20
	v_med3_i32 v6, v6, 0, 13
	v_and_b32_e32 v4, 0xffff, v4
	v_add_nc_u32_e32 v21, 0xfffffc10, v21
	s_delay_alu instid0(VALU_DEP_3) | instskip(NEXT) | instid1(VALU_DEP_3)
	v_lshrrev_b32_e32 v20, v6, v7
	v_lshl_or_b32 v3, v3, 16, v4
	s_delay_alu instid0(VALU_DEP_2)
	v_lshlrev_b32_e32 v4, v6, v20
	global_store_b32 v[14:15], v3, off
	v_add_co_u32 v3, s2, v14, s12
	v_lshrrev_b32_e32 v6, 16, v11
	v_cmp_ne_u32_e64 s1, v4, v7
	s_wait_alu 0xf1ff
	v_add_co_ci_u32_e64 v4, s2, s13, v15, s2
	scratch_load_b32 v15, off, off offset:36 th:TH_LOAD_LU ; 4-byte Folded Reload
	v_and_or_b32 v7, 0x1ff, v19, v18
	v_bfe_u32 v18, v19, 20, 11
	s_delay_alu instid0(VALU_DEP_2) | instskip(SKIP_1) | instid1(VALU_DEP_1)
	v_cmp_ne_u32_e64 s2, 0, v7
	s_wait_alu 0xf1ff
	v_cndmask_b32_e64 v7, 0, 1, s2
	s_wait_loadcnt 0x0
	v_mul_f16_e32 v14, v15, v6
	v_mul_f16_e32 v15, v15, v11
	s_delay_alu instid0(VALU_DEP_2) | instskip(SKIP_1) | instid1(VALU_DEP_3)
	v_fmac_f16_e32 v14, v27, v11
	v_lshrrev_b32_e32 v11, 8, v19
	v_fma_f16 v15, v27, v6, -v15
	s_delay_alu instid0(VALU_DEP_3) | instskip(NEXT) | instid1(VALU_DEP_3)
	v_cvt_f32_f16_e32 v14, v14
	v_and_or_b32 v26, 0xffe, v11, v7
	v_sub_nc_u32_e32 v7, 0x3f1, v18
	v_cvt_f32_f16_e32 v11, v17
	v_add_nc_u32_e32 v18, 0xfffffc10, v18
	s_delay_alu instid0(VALU_DEP_3) | instskip(SKIP_1) | instid1(VALU_DEP_1)
	v_med3_i32 v6, v7, 0, 13
	v_or_b32_e32 v7, 0x1000, v26
	v_lshrrev_b32_e32 v27, v6, v7
	s_delay_alu instid0(VALU_DEP_1) | instskip(NEXT) | instid1(VALU_DEP_1)
	v_lshlrev_b32_e32 v6, v6, v27
	v_cmp_ne_u32_e64 s2, v6, v7
	v_cvt_f64_f32_e32 v[6:7], v11
	s_delay_alu instid0(VALU_DEP_1) | instskip(NEXT) | instid1(VALU_DEP_1)
	v_mul_f64_e32 v[6:7], s[10:11], v[6:7]
	v_and_or_b32 v6, 0x1ff, v7, v6
	v_lshrrev_b32_e32 v11, 8, v7
	s_delay_alu instid0(VALU_DEP_2) | instskip(SKIP_1) | instid1(VALU_DEP_1)
	v_cmp_ne_u32_e64 s3, 0, v6
	s_wait_alu 0xf1ff
	v_cndmask_b32_e64 v6, 0, 1, s3
	s_delay_alu instid0(VALU_DEP_1) | instskip(SKIP_3) | instid1(VALU_DEP_3)
	v_and_or_b32 v17, 0xffe, v11, v6
	v_cndmask_b32_e64 v6, 0, 1, s0
	v_lshl_or_b32 v11, v9, 12, v5
	v_cmp_gt_i32_e64 s0, 1, v9
	v_or_b32_e32 v6, v12, v6
	s_wait_alu 0xf1ff
	s_delay_alu instid0(VALU_DEP_1) | instskip(SKIP_1) | instid1(VALU_DEP_1)
	v_cndmask_b32_e64 v6, v11, v6, s0
	v_cvt_f32_f16_e32 v11, v28
	v_cvt_f64_f32_e32 v[11:12], v11
	s_delay_alu instid0(VALU_DEP_1) | instskip(NEXT) | instid1(VALU_DEP_1)
	v_mul_f64_e32 v[11:12], s[10:11], v[11:12]
	v_and_or_b32 v11, 0x1ff, v12, v11
	v_lshrrev_b32_e32 v28, 8, v12
	s_delay_alu instid0(VALU_DEP_2) | instskip(SKIP_1) | instid1(VALU_DEP_1)
	v_cmp_ne_u32_e64 s0, 0, v11
	s_wait_alu 0xf1ff
	v_cndmask_b32_e64 v11, 0, 1, s0
	s_delay_alu instid0(VALU_DEP_1) | instskip(SKIP_2) | instid1(VALU_DEP_2)
	v_and_or_b32 v11, 0xffe, v28, v11
	v_and_b32_e32 v28, 7, v6
	v_lshrrev_b32_e32 v6, 2, v6
	v_cmp_lt_i32_e64 s0, 5, v28
	v_cmp_eq_u32_e64 s3, 3, v28
	s_wait_alu 0xfffd
	v_cndmask_b32_e64 v28, 0, 1, vcc_lo
	v_cmp_ne_u32_e32 vcc_lo, 0, v5
	v_add_nc_u32_e32 v5, 0xfffffc10, v16
	s_or_b32 s0, s3, s0
	s_delay_alu instid0(VALU_DEP_3)
	v_or_b32_e32 v22, v22, v28
	s_wait_alu 0xfffe
	v_add_co_ci_u32_e64 v6, s0, 0, v6, s0
	v_lshl_or_b32 v16, v5, 12, v1
	v_cmp_gt_i32_e64 s4, 1, v5
	v_cmp_gt_i32_e64 s0, 31, v9
	s_wait_alu 0xf1ff
	s_delay_alu instid0(VALU_DEP_2)
	v_cndmask_b32_e64 v16, v16, v22, s4
	s_wait_alu 0xfffd
	v_cndmask_b32_e64 v22, 0, 1, vcc_lo
	v_cndmask_b32_e64 v6, 0x7c00, v6, s0
	v_cmp_eq_u32_e32 vcc_lo, 0x40f, v9
	v_lshrrev_b32_e32 v9, 16, v13
	v_and_b32_e32 v13, 7, v16
	v_lshl_or_b32 v22, v22, 9, 0x7c00
	v_lshrrev_b32_e32 v16, 2, v16
	s_delay_alu instid0(VALU_DEP_3) | instskip(SKIP_1) | instid1(VALU_DEP_3)
	v_cmp_eq_u32_e64 s0, 3, v13
	s_wait_alu 0xfffd
	v_cndmask_b32_e32 v6, v6, v22, vcc_lo
	v_cmp_lt_i32_e32 vcc_lo, 5, v13
	v_bfe_u32 v13, v7, 20, 11
	v_or_b32_e32 v22, 0x1000, v17
	v_lshrrev_b32_e32 v7, 16, v7
	v_and_or_b32 v9, 0x8000, v9, v6
	s_or_b32 vcc_lo, s0, vcc_lo
	v_sub_nc_u32_e32 v6, 0x3f1, v13
	s_wait_alu 0xfffe
	v_add_co_ci_u32_e32 v16, vcc_lo, 0, v16, vcc_lo
	v_cmp_ne_u32_e32 vcc_lo, 0, v1
	v_and_b32_e32 v9, 0xffff, v9
	v_med3_i32 v6, v6, 0, 13
	s_wait_alu 0xfffd
	v_cndmask_b32_e64 v1, 0, 1, vcc_lo
	v_cmp_gt_i32_e32 vcc_lo, 31, v5
	s_delay_alu instid0(VALU_DEP_2)
	v_lshl_or_b32 v1, v1, 9, 0x7c00
	s_wait_alu 0xfffd
	v_cndmask_b32_e32 v16, 0x7c00, v16, vcc_lo
	v_cmp_eq_u32_e32 vcc_lo, 0x40f, v5
	v_cndmask_b32_e64 v5, 0, 1, s1
	s_wait_alu 0xfffd
	s_delay_alu instid0(VALU_DEP_3) | instskip(SKIP_1) | instid1(VALU_DEP_3)
	v_cndmask_b32_e32 v1, v16, v1, vcc_lo
	v_lshrrev_b32_e32 v16, v6, v22
	v_or_b32_e32 v20, v20, v5
	s_delay_alu instid0(VALU_DEP_3) | instskip(NEXT) | instid1(VALU_DEP_3)
	v_and_or_b32 v1, 0x8000, v23, v1
	v_lshlrev_b32_e32 v28, v6, v16
	v_cvt_f64_f32_e32 v[5:6], v14
	v_bfe_u32 v23, v12, 20, 11
	s_delay_alu instid0(VALU_DEP_4) | instskip(NEXT) | instid1(VALU_DEP_4)
	v_lshl_or_b32 v1, v1, 16, v9
	v_cmp_ne_u32_e32 vcc_lo, v28, v22
	v_add_nc_u32_e32 v22, 0xfffffc10, v13
	v_lshl_or_b32 v13, v21, 12, v24
	v_or_b32_e32 v28, 0x1000, v11
	global_store_b32 v[3:4], v1, off
	s_wait_alu 0xfffd
	v_cndmask_b32_e64 v14, 0, 1, vcc_lo
	v_cmp_gt_i32_e32 vcc_lo, 1, v21
	s_delay_alu instid0(VALU_DEP_2)
	v_or_b32_e32 v14, v16, v14
	v_lshl_or_b32 v16, v22, 12, v17
	s_wait_alu 0xfffd
	v_cndmask_b32_e32 v13, v13, v20, vcc_lo
	v_cmp_gt_i32_e32 vcc_lo, 1, v22
	v_sub_nc_u32_e32 v20, 0x3f1, v23
	s_wait_alu 0xfffd
	v_cndmask_b32_e32 v16, v16, v14, vcc_lo
	v_and_b32_e32 v14, 7, v13
	v_lshrrev_b32_e32 v13, 2, v13
	v_med3_i32 v20, v20, 0, 13
	s_delay_alu instid0(VALU_DEP_4) | instskip(NEXT) | instid1(VALU_DEP_4)
	v_and_b32_e32 v9, 7, v16
	v_cmp_lt_i32_e32 vcc_lo, 5, v14
	v_cmp_eq_u32_e64 s0, 3, v14
	v_cvt_f32_f16_e32 v14, v15
	s_delay_alu instid0(VALU_DEP_4) | instskip(SKIP_1) | instid1(VALU_DEP_4)
	v_cmp_lt_i32_e64 s1, 5, v9
	v_cmp_eq_u32_e64 s3, 3, v9
	s_or_b32 vcc_lo, s0, vcc_lo
	s_wait_alu 0xfffe
	v_add_co_ci_u32_e32 v9, vcc_lo, 0, v13, vcc_lo
	v_cmp_ne_u32_e32 vcc_lo, 0, v24
	v_lshrrev_b32_e32 v24, v20, v28
	v_mul_f64_e32 v[5:6], s[10:11], v[5:6]
	s_wait_alu 0xfffd
	v_cndmask_b32_e64 v13, 0, 1, vcc_lo
	v_cmp_gt_i32_e32 vcc_lo, 31, v21
	v_lshlrev_b32_e32 v20, v20, v24
	s_delay_alu instid0(VALU_DEP_3)
	v_lshl_or_b32 v15, v13, 9, 0x7c00
	s_wait_alu 0xfffd
	v_cndmask_b32_e32 v9, 0x7c00, v9, vcc_lo
	v_cmp_eq_u32_e32 vcc_lo, 0x40f, v21
	v_lshl_or_b32 v21, v18, 12, v26
	v_cvt_f64_f32_e32 v[13:14], v14
	s_wait_alu 0xfffd
	v_cndmask_b32_e32 v9, v9, v15, vcc_lo
	v_lshrrev_b32_e32 v15, 2, v16
	s_or_b32 vcc_lo, s3, s1
	v_cndmask_b32_e64 v16, 0, 1, s2
	s_delay_alu instid0(VALU_DEP_3)
	v_and_or_b32 v9, 0x8000, v25, v9
	s_wait_alu 0xfffe
	v_add_co_ci_u32_e32 v15, vcc_lo, 0, v15, vcc_lo
	v_cmp_ne_u32_e32 vcc_lo, 0, v17
	v_or_b32_e32 v16, v27, v16
	scratch_load_b32 v27, off, off offset:24 th:TH_LOAD_LU ; 4-byte Folded Reload
	v_and_b32_e32 v9, 0xffff, v9
	s_wait_alu 0xfffd
	v_cndmask_b32_e64 v17, 0, 1, vcc_lo
	v_cmp_gt_i32_e32 vcc_lo, 31, v22
	s_delay_alu instid0(VALU_DEP_2)
	v_lshl_or_b32 v17, v17, 9, 0x7c00
	s_wait_alu 0xfffd
	v_cndmask_b32_e32 v15, 0x7c00, v15, vcc_lo
	v_cmp_gt_i32_e32 vcc_lo, 1, v18
	v_and_or_b32 v1, 0x1ff, v6, v5
	s_wait_alu 0xfffd
	v_cndmask_b32_e32 v16, v21, v16, vcc_lo
	v_cmp_eq_u32_e32 vcc_lo, 0x40f, v22
	s_delay_alu instid0(VALU_DEP_3) | instskip(NEXT) | instid1(VALU_DEP_3)
	v_cmp_ne_u32_e64 s1, 0, v1
	v_and_b32_e32 v21, 7, v16
	s_wait_alu 0xfffd
	v_cndmask_b32_e32 v15, v15, v17, vcc_lo
	v_cmp_ne_u32_e32 vcc_lo, v20, v28
	v_add_nc_u32_e32 v20, 0xfffffc10, v23
	v_lshrrev_b32_e32 v16, 2, v16
	v_mul_f64_e32 v[13:14], s[10:11], v[13:14]
	v_and_or_b32 v7, 0x8000, v7, v15
	s_wait_alu 0xfffd
	v_cndmask_b32_e64 v17, 0, 1, vcc_lo
	v_lshl_or_b32 v22, v20, 12, v11
	v_cmp_gt_i32_e64 s0, 1, v20
	v_cmp_lt_i32_e32 vcc_lo, 5, v21
	s_wait_alu 0xf1ff
	v_cndmask_b32_e64 v1, 0, 1, s1
	v_or_b32_e32 v17, v24, v17
	scratch_load_b32 v24, off, off offset:28 th:TH_LOAD_LU ; 4-byte Folded Reload
	v_lshl_or_b32 v7, v7, 16, v9
	scratch_load_b32 v28, off, off offset:8 th:TH_LOAD_LU ; 4-byte Folded Reload
	v_cndmask_b32_e64 v15, v22, v17, s0
	v_lshrrev_b32_e32 v17, 16, v0
	v_cmp_eq_u32_e64 s0, 3, v21
	v_bfe_u32 v22, v6, 20, 11
	s_delay_alu instid0(VALU_DEP_4) | instskip(SKIP_1) | instid1(VALU_DEP_4)
	v_and_b32_e32 v5, 7, v15
	v_lshrrev_b32_e32 v15, 2, v15
	s_or_b32 vcc_lo, s0, vcc_lo
	s_delay_alu instid0(VALU_DEP_3)
	v_sub_nc_u32_e32 v25, 0x3f1, v22
	s_wait_alu 0xfffe
	v_add_co_ci_u32_e32 v16, vcc_lo, 0, v16, vcc_lo
	v_cmp_lt_i32_e64 s1, 5, v5
	v_cmp_eq_u32_e64 s2, 3, v5
	v_lshrrev_b32_e32 v5, 8, v6
	v_cmp_ne_u32_e32 vcc_lo, 0, v26
	v_med3_i32 v25, v25, 0, 13
	v_add_nc_u32_e32 v22, 0xfffffc10, v22
	s_delay_alu instid0(VALU_DEP_4) | instskip(SKIP_3) | instid1(VALU_DEP_2)
	v_and_or_b32 v5, 0xffe, v5, v1
	s_wait_alu 0xfffd
	v_cndmask_b32_e64 v1, 0, 1, vcc_lo
	v_cmp_gt_i32_e32 vcc_lo, 31, v18
	v_lshl_or_b32 v23, v1, 9, 0x7c00
	s_wait_alu 0xfffd
	v_cndmask_b32_e32 v16, 0x7c00, v16, vcc_lo
	v_cmp_eq_u32_e32 vcc_lo, 0x40f, v18
	v_and_or_b32 v13, 0x1ff, v14, v13
	v_bfe_u32 v26, v14, 20, 11
	s_wait_alu 0xfffd
	v_cndmask_b32_e32 v18, v16, v23, vcc_lo
	s_or_b32 vcc_lo, s2, s1
	s_wait_alu 0xfffe
	v_add_co_ci_u32_e32 v15, vcc_lo, 0, v15, vcc_lo
	v_cmp_ne_u32_e32 vcc_lo, 0, v11
	s_wait_alu 0xfffd
	v_cndmask_b32_e64 v11, 0, 1, vcc_lo
	v_cmp_gt_i32_e32 vcc_lo, 31, v20
	s_delay_alu instid0(VALU_DEP_2) | instskip(SKIP_3) | instid1(VALU_DEP_2)
	v_lshl_or_b32 v11, v11, 9, 0x7c00
	s_wait_loadcnt 0x1
	v_mul_f16_e32 v21, v24, v17
	v_mul_f16_e32 v24, v24, v0
	v_fmac_f16_e32 v21, v27, v0
	s_delay_alu instid0(VALU_DEP_2)
	v_fma_f16 v16, v27, v17, -v24
	v_lshrrev_b32_e32 v17, 16, v19
	s_wait_alu 0xfffd
	v_cndmask_b32_e32 v19, 0x7c00, v15, vcc_lo
	v_cmp_ne_u32_e32 vcc_lo, 0, v13
	v_cvt_f32_f16_e32 v21, v21
	scratch_load_b32 v27, off, off offset:20 th:TH_LOAD_LU ; 4-byte Folded Reload
	v_cvt_f32_f16_e32 v15, v16
	s_wait_alu 0xfffd
	v_cndmask_b32_e64 v13, 0, 1, vcc_lo
	v_cvt_f64_f32_e32 v[0:1], v21
	v_or_b32_e32 v21, 0x1000, v5
	v_cvt_f64_f32_e32 v[15:16], v15
	s_delay_alu instid0(VALU_DEP_2) | instskip(NEXT) | instid1(VALU_DEP_1)
	v_lshrrev_b32_e32 v23, v25, v21
	v_lshlrev_b32_e32 v24, v25, v23
	v_lshrrev_b32_e32 v25, 8, v14
	v_lshrrev_b32_e32 v14, 16, v14
	s_delay_alu instid0(VALU_DEP_3) | instskip(NEXT) | instid1(VALU_DEP_3)
	v_cmp_ne_u32_e32 vcc_lo, v24, v21
	v_and_or_b32 v13, 0xffe, v25, v13
	v_sub_nc_u32_e32 v24, 0x3f1, v26
	v_lshrrev_b32_e32 v25, 16, v12
	s_wait_alu 0xfffd
	v_cndmask_b32_e64 v21, 0, 1, vcc_lo
	v_cmp_eq_u32_e32 vcc_lo, 0x40f, v20
	v_med3_i32 v24, v24, 0, 13
	s_delay_alu instid0(VALU_DEP_3)
	v_or_b32_e32 v20, v23, v21
	s_wait_alu 0xfffd
	v_cndmask_b32_e32 v19, v19, v11, vcc_lo
	v_lshl_or_b32 v21, v22, 12, v5
	v_cmp_gt_i32_e32 vcc_lo, 1, v22
	v_or_b32_e32 v23, 0x1000, v13
	s_delay_alu instid0(VALU_DEP_4)
	v_and_or_b32 v9, 0x8000, v25, v19
	v_mul_f64_e32 v[11:12], s[10:11], v[0:1]
	s_wait_alu 0xfffd
	v_cndmask_b32_e32 v1, v21, v20, vcc_lo
	v_add_nc_u32_e32 v21, 0xfffffc10, v26
	scratch_load_b32 v26, off, off offset:16 th:TH_LOAD_LU ; 4-byte Folded Reload
	v_and_or_b32 v0, 0x8000, v17, v18
	v_lshrrev_b32_e32 v17, v24, v23
	v_and_b32_e32 v18, 7, v1
	v_lshrrev_b32_e32 v20, 16, v10
	v_add_co_u32 v3, vcc_lo, v3, s12
	s_delay_alu instid0(VALU_DEP_4)
	v_lshlrev_b32_e32 v19, v24, v17
	s_wait_alu 0xfffd
	v_add_co_ci_u32_e32 v4, vcc_lo, s13, v4, vcc_lo
	v_cmp_lt_i32_e32 vcc_lo, 5, v18
	v_cmp_eq_u32_e64 s0, 3, v18
	v_cmp_ne_u32_e64 s1, v19, v23
	v_lshrrev_b32_e32 v1, 2, v1
	v_mul_f64_e32 v[15:16], s[10:11], v[15:16]
	v_and_b32_e32 v0, 0xffff, v0
	s_or_b32 vcc_lo, s0, vcc_lo
	v_cndmask_b32_e64 v19, 0, 1, s1
	s_wait_alu 0xfffe
	v_add_co_ci_u32_e32 v1, vcc_lo, 0, v1, vcc_lo
	v_cmp_ne_u32_e32 vcc_lo, 0, v5
	v_lshl_or_b32 v23, v21, 12, v13
	v_or_b32_e32 v19, v17, v19
	v_lshl_or_b32 v24, v9, 16, v0
	s_wait_alu 0xfffd
	v_cndmask_b32_e64 v5, 0, 1, vcc_lo
	v_cmp_gt_i32_e32 vcc_lo, 1, v21
	s_delay_alu instid0(VALU_DEP_2) | instskip(SKIP_4) | instid1(VALU_DEP_3)
	v_lshl_or_b32 v5, v5, 9, 0x7c00
	s_wait_alu 0xfffd
	v_cndmask_b32_e32 v9, v23, v19, vcc_lo
	v_cmp_gt_i32_e32 vcc_lo, 31, v22
	v_and_or_b32 v11, 0x1ff, v12, v11
	v_and_b32_e32 v23, 7, v9
	s_wait_alu 0xfffd
	v_cndmask_b32_e32 v19, 0x7c00, v1, vcc_lo
	v_add_co_u32 v0, vcc_lo, v3, s12
	s_wait_alu 0xfffd
	v_add_co_ci_u32_e32 v1, vcc_lo, s13, v4, vcc_lo
	v_cmp_eq_u32_e32 vcc_lo, 0x40f, v22
	v_cmp_ne_u32_e64 s0, 0, v11
	v_lshrrev_b32_e32 v11, 8, v12
	v_bfe_u32 v22, v12, 20, 11
	global_store_b32 v[3:4], v7, off
	global_store_b32 v[0:1], v24, off
	s_wait_alu 0xfffd
	v_cndmask_b32_e32 v19, v19, v5, vcc_lo
	v_cmp_lt_i32_e32 vcc_lo, 5, v23
	s_wait_alu 0xf1ff
	v_cndmask_b32_e64 v5, 0, 1, s0
	v_cmp_eq_u32_e64 s0, 3, v23
	v_lshrrev_b32_e32 v23, 16, v6
	v_lshrrev_b32_e32 v6, 2, v9
	scratch_load_b32 v24, off, off th:TH_LOAD_LU ; 4-byte Folded Reload
	v_and_or_b32 v11, 0xffe, v11, v5
	s_or_b32 vcc_lo, s0, vcc_lo
	v_sub_nc_u32_e32 v5, 0x3f1, v22
	s_wait_alu 0xfffe
	v_add_co_ci_u32_e32 v6, vcc_lo, 0, v6, vcc_lo
	v_cmp_ne_u32_e32 vcc_lo, 0, v13
	v_or_b32_e32 v25, 0x1000, v11
	v_med3_i32 v5, v5, 0, 13
	v_and_or_b32 v13, 0x1ff, v16, v15
	v_add_nc_u32_e32 v22, 0xfffffc10, v22
	v_and_or_b32 v19, 0x8000, v23, v19
	v_lshrrev_b32_e32 v12, 16, v12
	v_lshrrev_b32_e32 v15, v5, v25
	s_delay_alu instid0(VALU_DEP_3)
	v_and_b32_e32 v19, 0xffff, v19
	s_wait_loadcnt 0x2
	v_mul_f16_e32 v18, v27, v20
	v_mul_f16_e32 v9, v27, v10
	v_lshlrev_b32_e32 v27, v5, v15
	s_wait_loadcnt 0x1
	s_delay_alu instid0(VALU_DEP_3)
	v_fmac_f16_e32 v18, v26, v10
	s_wait_alu 0xfffd
	v_cndmask_b32_e64 v10, 0, 1, vcc_lo
	v_cmp_gt_i32_e32 vcc_lo, 31, v21
	v_fma_f16 v9, v26, v20, -v9
	v_cvt_f32_f16_e32 v17, v18
	s_delay_alu instid0(VALU_DEP_4)
	v_lshl_or_b32 v26, v10, 9, 0x7c00
	s_wait_alu 0xfffd
	v_cndmask_b32_e32 v20, 0x7c00, v6, vcc_lo
	v_cmp_ne_u32_e32 vcc_lo, 0, v13
	v_cvt_f32_f16_e32 v9, v9
	v_cvt_f64_f32_e32 v[17:18], v17
	s_wait_alu 0xfffd
	v_cndmask_b32_e64 v13, 0, 1, vcc_lo
	v_cmp_eq_u32_e32 vcc_lo, 0x40f, v21
	v_cvt_f64_f32_e32 v[9:10], v9
	s_wait_alu 0xfffd
	v_cndmask_b32_e32 v20, v20, v26, vcc_lo
	v_cmp_ne_u32_e32 vcc_lo, v27, v25
	v_lshrrev_b32_e32 v26, 16, v2
	s_delay_alu instid0(VALU_DEP_3) | instskip(SKIP_3) | instid1(VALU_DEP_3)
	v_and_or_b32 v14, 0x8000, v14, v20
	s_wait_alu 0xfffd
	v_cndmask_b32_e64 v21, 0, 1, vcc_lo
	v_cmp_gt_i32_e32 vcc_lo, 1, v22
	v_lshl_or_b32 v3, v14, 16, v19
	s_delay_alu instid0(VALU_DEP_3) | instskip(SKIP_2) | instid1(VALU_DEP_1)
	v_or_b32_e32 v15, v15, v21
	v_lshl_or_b32 v21, v22, 12, v11
	s_wait_alu 0xfffd
	v_cndmask_b32_e32 v15, v21, v15, vcc_lo
	v_mul_f16_e32 v21, v29, v26
	s_delay_alu instid0(VALU_DEP_2) | instskip(NEXT) | instid1(VALU_DEP_2)
	v_and_b32_e32 v20, 7, v15
	v_fmac_f16_e32 v21, v28, v2
	v_lshrrev_b32_e32 v15, 2, v15
	v_mul_f16_e32 v2, v29, v2
	s_delay_alu instid0(VALU_DEP_4) | instskip(NEXT) | instid1(VALU_DEP_4)
	v_cmp_lt_i32_e32 vcc_lo, 5, v20
	v_cvt_f32_f16_e32 v4, v21
	v_mul_f64_e32 v[5:6], s[10:11], v[17:18]
	v_lshrrev_b32_e32 v17, 8, v16
	v_bfe_u32 v18, v16, 20, 11
	v_fma_f16 v2, v28, v26, -v2
	v_lshrrev_b32_e32 v16, 16, v16
	s_delay_alu instid0(VALU_DEP_4) | instskip(NEXT) | instid1(VALU_DEP_4)
	v_and_or_b32 v17, 0xffe, v17, v13
	v_sub_nc_u32_e32 v13, 0x3f1, v18
	v_add_nc_u32_e32 v18, 0xfffffc10, v18
	v_cvt_f32_f16_e32 v2, v2
	s_delay_alu instid0(VALU_DEP_4) | instskip(NEXT) | instid1(VALU_DEP_4)
	v_or_b32_e32 v25, 0x1000, v17
	v_med3_i32 v13, v13, 0, 13
	s_delay_alu instid0(VALU_DEP_1) | instskip(NEXT) | instid1(VALU_DEP_1)
	v_lshrrev_b32_e32 v27, v13, v25
	v_lshlrev_b32_e32 v13, v13, v27
	s_delay_alu instid0(VALU_DEP_1)
	v_cmp_ne_u32_e64 s0, v13, v25
	scratch_load_b32 v25, off, off offset:4 th:TH_LOAD_LU ; 4-byte Folded Reload
	v_cvt_f64_f32_e32 v[13:14], v4
	s_wait_alu 0xf1ff
	v_cndmask_b32_e64 v7, 0, 1, s0
	v_cmp_eq_u32_e64 s0, 3, v20
	v_lshl_or_b32 v20, v18, 12, v17
	s_delay_alu instid0(VALU_DEP_3) | instskip(SKIP_1) | instid1(VALU_DEP_4)
	v_or_b32_e32 v7, v27, v7
	v_and_or_b32 v19, 0x1ff, v6, v5
	s_or_b32 vcc_lo, s0, vcc_lo
	v_mul_f64_e32 v[4:5], s[10:11], v[9:10]
	s_wait_alu 0xfffe
	v_add_co_ci_u32_e32 v15, vcc_lo, 0, v15, vcc_lo
	v_cmp_ne_u32_e64 s1, 0, v19
	v_cmp_gt_i32_e32 vcc_lo, 1, v18
	v_lshrrev_b32_e32 v10, 8, v6
	v_bfe_u32 v19, v6, 20, 11
	s_wait_alu 0xf1ff
	v_cndmask_b32_e64 v9, 0, 1, s1
	s_wait_alu 0xfffd
	v_cndmask_b32_e32 v7, v20, v7, vcc_lo
	v_cmp_ne_u32_e32 vcc_lo, 0, v11
	v_cmp_eq_u32_e64 s1, 0x40f, v22
	v_and_or_b32 v20, 0xffe, v10, v9
	v_sub_nc_u32_e32 v9, 0x3f1, v19
	s_wait_alu 0xfffd
	v_cndmask_b32_e64 v10, 0, 1, vcc_lo
	v_and_b32_e32 v11, 7, v7
	v_cmp_gt_i32_e32 vcc_lo, 31, v22
	v_or_b32_e32 v21, 0x1000, v20
	v_med3_i32 v9, v9, 0, 13
	v_lshrrev_b32_e32 v7, 2, v7
	v_cmp_eq_u32_e64 s0, 3, v11
	s_wait_alu 0xfffd
	v_cndmask_b32_e32 v15, 0x7c00, v15, vcc_lo
	v_cmp_lt_i32_e32 vcc_lo, 5, v11
	v_lshl_or_b32 v10, v10, 9, 0x7c00
	v_lshrrev_b32_e32 v23, v9, v21
	s_or_b32 vcc_lo, s0, vcc_lo
	s_delay_alu instid0(VALU_DEP_2)
	v_cndmask_b32_e64 v11, v15, v10, s1
	s_wait_alu 0xfffe
	v_add_co_ci_u32_e32 v7, vcc_lo, 0, v7, vcc_lo
	v_lshlrev_b32_e32 v15, v9, v23
	v_cmp_ne_u32_e32 vcc_lo, 0, v17
	v_mul_f64_e32 v[9:10], s[10:11], v[13:14]
	s_wait_alu 0xfffd
	v_cndmask_b32_e64 v17, 0, 1, vcc_lo
	v_cmp_ne_u32_e32 vcc_lo, v15, v21
	v_add_nc_u32_e32 v15, 0xfffffc10, v19
	v_and_or_b32 v4, 0x1ff, v5, v4
	v_and_or_b32 v19, 0x8000, v12, v11
	v_lshl_or_b32 v14, v17, 9, 0x7c00
	s_wait_alu 0xfffd
	v_cndmask_b32_e64 v13, 0, 1, vcc_lo
	v_cmp_gt_i32_e32 vcc_lo, 31, v18
	v_lshl_or_b32 v17, v15, 12, v20
	v_cvt_f64_f32_e32 v[11:12], v2
	v_lshrrev_b32_e32 v21, 16, v8
	v_or_b32_e32 v13, v23, v13
	s_wait_alu 0xfffd
	v_cndmask_b32_e32 v7, 0x7c00, v7, vcc_lo
	v_cmp_gt_i32_e32 vcc_lo, 1, v15
	v_bfe_u32 v2, v5, 20, 11
	v_and_b32_e32 v19, 0xffff, v19
	s_wait_alu 0xfffd
	v_cndmask_b32_e32 v13, v17, v13, vcc_lo
	v_cmp_ne_u32_e32 vcc_lo, 0, v4
	v_lshrrev_b32_e32 v17, 8, v5
	s_wait_alu 0xfffd
	v_cndmask_b32_e64 v4, 0, 1, vcc_lo
	v_cmp_eq_u32_e32 vcc_lo, 0x40f, v18
	s_delay_alu instid0(VALU_DEP_2)
	v_and_or_b32 v4, 0xffe, v17, v4
	s_wait_alu 0xfffd
	v_dual_cndmask_b32 v7, v7, v14 :: v_dual_and_b32 v14, 7, v13
	v_sub_nc_u32_e32 v17, 0x3f1, v2
	v_add_nc_u32_e32 v2, 0xfffffc10, v2
	v_or_b32_e32 v22, 0x1000, v4
	s_delay_alu instid0(VALU_DEP_4)
	v_and_or_b32 v16, 0x8000, v16, v7
	v_cmp_lt_i32_e32 vcc_lo, 5, v14
	v_cmp_eq_u32_e64 s0, 3, v14
	v_lshrrev_b32_e32 v7, 2, v13
	v_med3_i32 v17, v17, 0, 13
	v_and_or_b32 v9, 0x1ff, v10, v9
	v_lshl_or_b32 v16, v16, 16, v19
	s_or_b32 vcc_lo, s0, vcc_lo
	s_delay_alu instid0(VALU_DEP_3) | instskip(SKIP_2) | instid1(VALU_DEP_1)
	v_lshrrev_b32_e32 v23, v17, v22
	s_wait_loadcnt 0x0
	v_mul_f16_e32 v18, v25, v21
	v_fmac_f16_e32 v18, v24, v8
	v_mul_f16_e32 v8, v25, v8
	s_delay_alu instid0(VALU_DEP_2)
	v_cvt_f32_f16_e32 v13, v18
	s_wait_alu 0xfffe
	v_add_co_ci_u32_e32 v18, vcc_lo, 0, v7, vcc_lo
	v_cmp_ne_u32_e32 vcc_lo, 0, v20
	v_lshlrev_b32_e32 v7, v17, v23
	v_cvt_f64_f32_e32 v[13:14], v13
	v_lshrrev_b32_e32 v20, 8, v10
	v_fma_f16 v8, v24, v21, -v8
	s_wait_alu 0xfffd
	v_cndmask_b32_e64 v17, 0, 1, vcc_lo
	v_cmp_ne_u32_e32 vcc_lo, 0, v9
	s_delay_alu instid0(VALU_DEP_2)
	v_lshl_or_b32 v17, v17, 9, 0x7c00
	s_wait_alu 0xfffd
	v_cndmask_b32_e64 v9, 0, 1, vcc_lo
	v_cmp_ne_u32_e32 vcc_lo, v7, v22
	v_bfe_u32 v22, v10, 20, 11
	v_lshrrev_b32_e32 v10, 16, v10
	s_delay_alu instid0(VALU_DEP_4)
	v_and_or_b32 v9, 0xffe, v20, v9
	v_cvt_f32_f16_e32 v20, v8
	s_wait_alu 0xfffd
	v_cndmask_b32_e64 v21, 0, 1, vcc_lo
	v_mul_f64_e32 v[7:8], s[10:11], v[11:12]
	v_sub_nc_u32_e32 v24, 0x3f1, v22
	v_cmp_gt_i32_e32 vcc_lo, 31, v15
	v_cvt_f64_f32_e32 v[11:12], v20
	v_or_b32_e32 v21, v23, v21
	v_lshl_or_b32 v23, v2, 12, v4
	v_or_b32_e32 v20, 0x1000, v9
	v_med3_i32 v24, v24, 0, 13
	s_wait_alu 0xfffd
	v_cndmask_b32_e32 v18, 0x7c00, v18, vcc_lo
	v_cmp_gt_i32_e32 vcc_lo, 1, v2
	v_add_nc_u32_e32 v19, 0xfffffc10, v22
	v_lshrrev_b32_e32 v25, v24, v20
	s_wait_alu 0xfffd
	v_cndmask_b32_e32 v21, v23, v21, vcc_lo
	v_add_co_u32 v0, vcc_lo, v0, s12
	s_wait_alu 0xfffd
	v_add_co_ci_u32_e32 v1, vcc_lo, s13, v1, vcc_lo
	v_lshlrev_b32_e32 v23, v24, v25
	v_and_b32_e32 v24, 7, v21
	v_cmp_eq_u32_e32 vcc_lo, 0x40f, v15
	v_mul_f64_e32 v[13:14], s[10:11], v[13:14]
	s_delay_alu instid0(VALU_DEP_4) | instskip(NEXT) | instid1(VALU_DEP_4)
	v_cmp_ne_u32_e64 s1, v23, v20
	v_cmp_eq_u32_e64 s0, 3, v24
	s_wait_alu 0xfffd
	v_cndmask_b32_e32 v15, v18, v17, vcc_lo
	v_cmp_lt_i32_e32 vcc_lo, 5, v24
	v_lshrrev_b32_e32 v17, 16, v6
	v_lshrrev_b32_e32 v6, 2, v21
	s_wait_alu 0xf1ff
	v_cndmask_b32_e64 v18, 0, 1, s1
	v_lshl_or_b32 v20, v19, 12, v9
	s_or_b32 vcc_lo, s0, vcc_lo
	v_and_or_b32 v15, 0x8000, v17, v15
	s_wait_alu 0xfffe
	v_add_co_ci_u32_e32 v6, vcc_lo, 0, v6, vcc_lo
	v_cmp_ne_u32_e32 vcc_lo, 0, v4
	v_or_b32_e32 v18, v25, v18
	v_and_or_b32 v22, 0x1ff, v8, v7
	v_bfe_u32 v23, v8, 20, 11
	v_and_b32_e32 v15, 0xffff, v15
	s_wait_alu 0xfffd
	v_cndmask_b32_e64 v4, 0, 1, vcc_lo
	v_cmp_gt_i32_e32 vcc_lo, 31, v2
	s_delay_alu instid0(VALU_DEP_2)
	v_lshl_or_b32 v4, v4, 9, 0x7c00
	s_wait_alu 0xfffd
	v_cndmask_b32_e32 v21, 0x7c00, v6, vcc_lo
	v_mul_f64_e32 v[6:7], s[10:11], v[11:12]
	v_add_co_u32 v11, vcc_lo, v0, s12
	s_wait_alu 0xfffd
	v_add_co_ci_u32_e32 v12, vcc_lo, s13, v1, vcc_lo
	v_cmp_gt_i32_e32 vcc_lo, 1, v19
	s_wait_alu 0xfffd
	v_cndmask_b32_e32 v18, v20, v18, vcc_lo
	v_cmp_ne_u32_e32 vcc_lo, 0, v22
	v_lshrrev_b32_e32 v22, 8, v8
	v_lshrrev_b32_e32 v8, 16, v8
	s_wait_alu 0xfffd
	v_cndmask_b32_e64 v20, 0, 1, vcc_lo
	v_cmp_eq_u32_e32 vcc_lo, 0x40f, v2
	s_delay_alu instid0(VALU_DEP_2)
	v_and_or_b32 v20, 0xffe, v22, v20
	s_wait_alu 0xfffd
	v_cndmask_b32_e32 v2, v21, v4, vcc_lo
	v_lshrrev_b32_e32 v4, 16, v5
	v_and_b32_e32 v5, 7, v18
	v_sub_nc_u32_e32 v21, 0x3f1, v23
	v_bfe_u32 v22, v14, 20, 11
	s_delay_alu instid0(VALU_DEP_4) | instskip(NEXT) | instid1(VALU_DEP_4)
	v_and_or_b32 v2, 0x8000, v4, v2
	v_cmp_lt_i32_e32 vcc_lo, 5, v5
	v_cmp_eq_u32_e64 s0, 3, v5
	v_and_or_b32 v5, 0x1ff, v14, v13
	v_lshrrev_b32_e32 v13, 2, v18
	v_or_b32_e32 v4, 0x1000, v20
	v_med3_i32 v17, v21, 0, 13
	s_or_b32 vcc_lo, s0, vcc_lo
	v_lshrrev_b32_e32 v21, 8, v14
	s_wait_alu 0xfffe
	v_add_co_ci_u32_e32 v13, vcc_lo, 0, v13, vcc_lo
	v_lshrrev_b32_e32 v18, v17, v4
	v_cmp_ne_u32_e32 vcc_lo, 0, v5
	v_and_or_b32 v6, 0x1ff, v7, v6
	v_lshrrev_b32_e32 v24, 8, v7
	v_bfe_u32 v25, v7, 20, 11
	v_lshlrev_b32_e32 v17, v17, v18
	s_wait_alu 0xfffd
	v_cndmask_b32_e64 v5, 0, 1, vcc_lo
	v_cmp_ne_u32_e32 vcc_lo, 0, v9
	v_lshrrev_b32_e32 v7, 16, v7
	v_lshl_or_b32 v2, v2, 16, v15
	s_delay_alu instid0(VALU_DEP_4)
	v_and_or_b32 v5, 0xffe, v21, v5
	s_wait_alu 0xfffd
	v_cndmask_b32_e64 v9, 0, 1, vcc_lo
	v_cmp_ne_u32_e32 vcc_lo, v17, v4
	v_sub_nc_u32_e32 v21, 0x3f1, v22
	v_add_nc_u32_e32 v17, 0xfffffc10, v23
	v_or_b32_e32 v23, 0x1000, v5
	v_lshl_or_b32 v9, v9, 9, 0x7c00
	s_wait_alu 0xfffd
	v_cndmask_b32_e64 v4, 0, 1, vcc_lo
	v_cmp_gt_i32_e32 vcc_lo, 31, v19
	v_med3_i32 v21, v21, 0, 13
	s_delay_alu instid0(VALU_DEP_3)
	v_or_b32_e32 v4, v18, v4
	s_wait_alu 0xfffd
	v_cndmask_b32_e32 v13, 0x7c00, v13, vcc_lo
	v_cmp_ne_u32_e32 vcc_lo, 0, v6
	v_lshl_or_b32 v18, v17, 12, v20
	v_lshrrev_b32_e32 v26, v21, v23
	s_wait_alu 0xfffd
	v_cndmask_b32_e64 v6, 0, 1, vcc_lo
	v_cmp_gt_i32_e32 vcc_lo, 1, v17
	s_delay_alu instid0(VALU_DEP_2)
	v_and_or_b32 v6, 0xffe, v24, v6
	v_sub_nc_u32_e32 v24, 0x3f1, v25
	s_wait_alu 0xfffd
	v_cndmask_b32_e32 v4, v18, v4, vcc_lo
	v_lshlrev_b32_e32 v18, v21, v26
	v_cmp_eq_u32_e32 vcc_lo, 0x40f, v19
	v_or_b32_e32 v21, 0x1000, v6
	v_med3_i32 v24, v24, 0, 13
	v_and_b32_e32 v27, 7, v4
	v_lshrrev_b32_e32 v4, 2, v4
	s_wait_alu 0xfffd
	v_cndmask_b32_e32 v9, v13, v9, vcc_lo
	v_cmp_ne_u32_e32 vcc_lo, v18, v23
	v_add_nc_u32_e32 v18, 0xfffffc10, v22
	v_lshrrev_b32_e32 v19, v24, v21
	v_cmp_eq_u32_e64 s0, 3, v27
	v_and_or_b32 v9, 0x8000, v10, v9
	s_wait_alu 0xfffd
	v_cndmask_b32_e64 v13, 0, 1, vcc_lo
	v_lshl_or_b32 v22, v18, 12, v5
	v_lshlrev_b32_e32 v23, v24, v19
	v_cmp_gt_i32_e64 s1, 1, v18
	v_cmp_lt_i32_e32 vcc_lo, 5, v27
	v_or_b32_e32 v13, v26, v13
	v_and_b32_e32 v9, 0xffff, v9
	s_or_b32 vcc_lo, s0, vcc_lo
	s_delay_alu instid0(VALU_DEP_2)
	v_cndmask_b32_e64 v13, v22, v13, s1
	v_cmp_ne_u32_e64 s1, v23, v21
	v_add_nc_u32_e32 v22, 0xfffffc10, v25
	s_wait_alu 0xfffe
	v_add_co_ci_u32_e32 v4, vcc_lo, 0, v4, vcc_lo
	v_and_b32_e32 v23, 7, v13
	s_wait_alu 0xf1ff
	v_cndmask_b32_e64 v21, 0, 1, s1
	v_cmp_ne_u32_e32 vcc_lo, 0, v20
	v_cmp_gt_i32_e64 s0, 1, v22
	v_lshrrev_b32_e32 v13, 2, v13
	v_cmp_gt_i32_e64 s1, 31, v17
	v_or_b32_e32 v19, v19, v21
	v_lshl_or_b32 v21, v22, 12, v6
	s_wait_alu 0xfffd
	v_cndmask_b32_e64 v20, 0, 1, vcc_lo
	v_cmp_lt_i32_e32 vcc_lo, 5, v23
	s_wait_alu 0xf1ff
	v_cndmask_b32_e64 v4, 0x7c00, v4, s1
	v_cmp_eq_u32_e64 s1, 0x40f, v17
	v_cndmask_b32_e64 v10, v21, v19, s0
	v_cmp_eq_u32_e64 s0, 3, v23
	v_lshl_or_b32 v19, v20, 9, 0x7c00
	s_delay_alu instid0(VALU_DEP_3) | instskip(NEXT) | instid1(VALU_DEP_3)
	v_and_b32_e32 v20, 7, v10
	s_or_b32 vcc_lo, s0, vcc_lo
	v_lshrrev_b32_e32 v10, 2, v10
	s_wait_alu 0xfffe
	v_add_co_ci_u32_e32 v13, vcc_lo, 0, v13, vcc_lo
	v_cmp_ne_u32_e32 vcc_lo, 0, v5
	v_cmp_eq_u32_e64 s0, 3, v20
	v_cndmask_b32_e64 v4, v4, v19, s1
	v_cmp_gt_i32_e64 s1, 31, v18
	s_wait_alu 0xfffd
	v_cndmask_b32_e64 v5, 0, 1, vcc_lo
	v_cmp_lt_i32_e32 vcc_lo, 5, v20
	v_and_or_b32 v8, 0x8000, v8, v4
	s_wait_alu 0xf1ff
	v_cndmask_b32_e64 v13, 0x7c00, v13, s1
	v_lshl_or_b32 v5, v5, 9, 0x7c00
	s_or_b32 vcc_lo, s0, vcc_lo
	s_wait_alu 0xfffe
	v_add_co_ci_u32_e32 v10, vcc_lo, 0, v10, vcc_lo
	v_cmp_ne_u32_e32 vcc_lo, 0, v6
	s_wait_alu 0xfffd
	v_cndmask_b32_e64 v6, 0, 1, vcc_lo
	v_cmp_eq_u32_e32 vcc_lo, 0x40f, v18
	s_delay_alu instid0(VALU_DEP_2)
	v_lshl_or_b32 v6, v6, 9, 0x7c00
	s_wait_alu 0xfffd
	v_cndmask_b32_e32 v5, v13, v5, vcc_lo
	v_cmp_gt_i32_e32 vcc_lo, 31, v22
	v_lshrrev_b32_e32 v13, 16, v14
	s_wait_alu 0xfffd
	v_cndmask_b32_e32 v10, 0x7c00, v10, vcc_lo
	v_cmp_eq_u32_e32 vcc_lo, 0x40f, v22
	s_delay_alu instid0(VALU_DEP_3) | instskip(SKIP_1) | instid1(VALU_DEP_3)
	v_and_or_b32 v13, 0x8000, v13, v5
	s_wait_alu 0xfffd
	v_cndmask_b32_e32 v6, v10, v6, vcc_lo
	v_add_co_u32 v4, vcc_lo, v11, s12
	s_wait_alu 0xfffd
	v_add_co_ci_u32_e32 v5, vcc_lo, s13, v12, vcc_lo
	v_lshl_or_b32 v10, v8, 16, v9
	v_and_or_b32 v8, 0x8000, v7, v6
	v_and_b32_e32 v9, 0xffff, v13
	v_add_co_u32 v6, vcc_lo, v4, s12
	s_wait_alu 0xfffd
	v_add_co_ci_u32_e32 v7, vcc_lo, s13, v5, vcc_lo
	s_delay_alu instid0(VALU_DEP_3) | instskip(NEXT) | instid1(VALU_DEP_3)
	v_lshl_or_b32 v13, v8, 16, v9
	v_add_co_u32 v8, vcc_lo, v6, s12
	s_wait_alu 0xfffd
	s_delay_alu instid0(VALU_DEP_3)
	v_add_co_ci_u32_e32 v9, vcc_lo, s13, v7, vcc_lo
	global_store_b32 v[0:1], v3, off
	global_store_b32 v[11:12], v16, off
	;; [unrolled: 1-line block ×5, first 2 shown]
.LBB0_2:
	s_nop 0
	s_sendmsg sendmsg(MSG_DEALLOC_VGPRS)
	s_endpgm
	.section	.rodata,"a",@progbits
	.p2align	6, 0x0
	.amdhsa_kernel bluestein_single_back_len3000_dim1_half_op_CI_CI
		.amdhsa_group_segment_fixed_size 12000
		.amdhsa_private_segment_fixed_size 304
		.amdhsa_kernarg_size 104
		.amdhsa_user_sgpr_count 2
		.amdhsa_user_sgpr_dispatch_ptr 0
		.amdhsa_user_sgpr_queue_ptr 0
		.amdhsa_user_sgpr_kernarg_segment_ptr 1
		.amdhsa_user_sgpr_dispatch_id 0
		.amdhsa_user_sgpr_private_segment_size 0
		.amdhsa_wavefront_size32 1
		.amdhsa_uses_dynamic_stack 0
		.amdhsa_enable_private_segment 1
		.amdhsa_system_sgpr_workgroup_id_x 1
		.amdhsa_system_sgpr_workgroup_id_y 0
		.amdhsa_system_sgpr_workgroup_id_z 0
		.amdhsa_system_sgpr_workgroup_info 0
		.amdhsa_system_vgpr_workitem_id 0
		.amdhsa_next_free_vgpr 256
		.amdhsa_next_free_sgpr 20
		.amdhsa_reserve_vcc 1
		.amdhsa_float_round_mode_32 0
		.amdhsa_float_round_mode_16_64 0
		.amdhsa_float_denorm_mode_32 3
		.amdhsa_float_denorm_mode_16_64 3
		.amdhsa_fp16_overflow 0
		.amdhsa_workgroup_processor_mode 1
		.amdhsa_memory_ordered 1
		.amdhsa_forward_progress 0
		.amdhsa_round_robin_scheduling 0
		.amdhsa_exception_fp_ieee_invalid_op 0
		.amdhsa_exception_fp_denorm_src 0
		.amdhsa_exception_fp_ieee_div_zero 0
		.amdhsa_exception_fp_ieee_overflow 0
		.amdhsa_exception_fp_ieee_underflow 0
		.amdhsa_exception_fp_ieee_inexact 0
		.amdhsa_exception_int_div_zero 0
	.end_amdhsa_kernel
	.text
.Lfunc_end0:
	.size	bluestein_single_back_len3000_dim1_half_op_CI_CI, .Lfunc_end0-bluestein_single_back_len3000_dim1_half_op_CI_CI
                                        ; -- End function
	.section	.AMDGPU.csdata,"",@progbits
; Kernel info:
; codeLenInByte = 61436
; NumSgprs: 22
; NumVgprs: 256
; ScratchSize: 304
; MemoryBound: 0
; FloatMode: 240
; IeeeMode: 1
; LDSByteSize: 12000 bytes/workgroup (compile time only)
; SGPRBlocks: 2
; VGPRBlocks: 31
; NumSGPRsForWavesPerEU: 22
; NumVGPRsForWavesPerEU: 256
; Occupancy: 5
; WaveLimiterHint : 1
; COMPUTE_PGM_RSRC2:SCRATCH_EN: 1
; COMPUTE_PGM_RSRC2:USER_SGPR: 2
; COMPUTE_PGM_RSRC2:TRAP_HANDLER: 0
; COMPUTE_PGM_RSRC2:TGID_X_EN: 1
; COMPUTE_PGM_RSRC2:TGID_Y_EN: 0
; COMPUTE_PGM_RSRC2:TGID_Z_EN: 0
; COMPUTE_PGM_RSRC2:TIDIG_COMP_CNT: 0
	.text
	.p2alignl 7, 3214868480
	.fill 96, 4, 3214868480
	.type	__hip_cuid_a54c4afaabd1fc6c,@object ; @__hip_cuid_a54c4afaabd1fc6c
	.section	.bss,"aw",@nobits
	.globl	__hip_cuid_a54c4afaabd1fc6c
__hip_cuid_a54c4afaabd1fc6c:
	.byte	0                               ; 0x0
	.size	__hip_cuid_a54c4afaabd1fc6c, 1

	.ident	"AMD clang version 19.0.0git (https://github.com/RadeonOpenCompute/llvm-project roc-6.4.0 25133 c7fe45cf4b819c5991fe208aaa96edf142730f1d)"
	.section	".note.GNU-stack","",@progbits
	.addrsig
	.addrsig_sym __hip_cuid_a54c4afaabd1fc6c
	.amdgpu_metadata
---
amdhsa.kernels:
  - .args:
      - .actual_access:  read_only
        .address_space:  global
        .offset:         0
        .size:           8
        .value_kind:     global_buffer
      - .actual_access:  read_only
        .address_space:  global
        .offset:         8
        .size:           8
        .value_kind:     global_buffer
      - .actual_access:  read_only
        .address_space:  global
        .offset:         16
        .size:           8
        .value_kind:     global_buffer
      - .actual_access:  read_only
        .address_space:  global
        .offset:         24
        .size:           8
        .value_kind:     global_buffer
      - .actual_access:  read_only
        .address_space:  global
        .offset:         32
        .size:           8
        .value_kind:     global_buffer
      - .offset:         40
        .size:           8
        .value_kind:     by_value
      - .address_space:  global
        .offset:         48
        .size:           8
        .value_kind:     global_buffer
      - .address_space:  global
        .offset:         56
        .size:           8
        .value_kind:     global_buffer
      - .address_space:  global
        .offset:         64
        .size:           8
        .value_kind:     global_buffer
      - .address_space:  global
        .offset:         72
        .size:           8
        .value_kind:     global_buffer
      - .offset:         80
        .size:           4
        .value_kind:     by_value
      - .address_space:  global
        .offset:         88
        .size:           8
        .value_kind:     global_buffer
      - .address_space:  global
        .offset:         96
        .size:           8
        .value_kind:     global_buffer
    .group_segment_fixed_size: 12000
    .kernarg_segment_align: 8
    .kernarg_segment_size: 104
    .language:       OpenCL C
    .language_version:
      - 2
      - 0
    .max_flat_workgroup_size: 100
    .name:           bluestein_single_back_len3000_dim1_half_op_CI_CI
    .private_segment_fixed_size: 304
    .sgpr_count:     22
    .sgpr_spill_count: 0
    .symbol:         bluestein_single_back_len3000_dim1_half_op_CI_CI.kd
    .uniform_work_group_size: 1
    .uses_dynamic_stack: false
    .vgpr_count:     256
    .vgpr_spill_count: 75
    .wavefront_size: 32
    .workgroup_processor_mode: 1
amdhsa.target:   amdgcn-amd-amdhsa--gfx1201
amdhsa.version:
  - 1
  - 2
...

	.end_amdgpu_metadata
